;; amdgpu-corpus repo=LLNL/RAJAPerf kind=compiled arch=gfx906 opt=O3
	.amdgcn_target "amdgcn-amd-amdhsa--gfx906"
	.amdhsa_code_object_version 6
	.section	.text._ZN8rajaperf9polybench9poly_adi1ILm256EEEvldddddPdS2_S2_S2_,"axG",@progbits,_ZN8rajaperf9polybench9poly_adi1ILm256EEEvldddddPdS2_S2_S2_,comdat
	.protected	_ZN8rajaperf9polybench9poly_adi1ILm256EEEvldddddPdS2_S2_S2_ ; -- Begin function _ZN8rajaperf9polybench9poly_adi1ILm256EEEvldddddPdS2_S2_S2_
	.globl	_ZN8rajaperf9polybench9poly_adi1ILm256EEEvldddddPdS2_S2_S2_
	.p2align	8
	.type	_ZN8rajaperf9polybench9poly_adi1ILm256EEEvldddddPdS2_S2_S2_,@function
_ZN8rajaperf9polybench9poly_adi1ILm256EEEvldddddPdS2_S2_S2_: ; @_ZN8rajaperf9polybench9poly_adi1ILm256EEEvldddddPdS2_S2_S2_
; %bb.0:
	s_load_dwordx16 s[8:23], s[4:5], 0x0
	s_mov_b32 s7, 0
	s_lshl_b64 s[0:1], s[6:7], 8
	v_add_u32_e32 v1, 1, v0
	v_mov_b32_e32 v2, s1
	v_add_co_u32_e32 v4, vcc, s0, v1
	s_waitcnt lgkmcnt(0)
	s_add_u32 s2, s8, -1
	v_addc_co_u32_e32 v5, vcc, 0, v2, vcc
	s_addc_u32 s3, s9, -1
	v_cmp_gt_i64_e32 vcc, s[2:3], v[4:5]
	v_mov_b32_e32 v3, 0
	s_mov_b64 s[28:29], -1
	s_and_saveexec_b64 s[24:25], vcc
	s_cbranch_execz .LBB0_14
; %bb.1:
	s_load_dwordx4 s[24:27], s[4:5], 0x40
	v_mov_b32_e32 v2, s1
	v_add_co_u32_e32 v1, vcc, s0, v0
	v_mul_lo_u32 v9, v5, s8
	v_mul_lo_u32 v10, v4, s9
	v_mad_u64_u32 v[5:6], s[0:1], v4, s8, 0
	v_addc_co_u32_e32 v2, vcc, 0, v2, vcc
	v_lshlrev_b64 v[1:2], 3, v[1:2]
	v_add3_u32 v6, v6, v10, v9
	s_waitcnt lgkmcnt(0)
	v_mov_b32_e32 v8, s27
	v_add_co_u32_e32 v7, vcc, s26, v1
	v_lshlrev_b64 v[5:6], 3, v[5:6]
	v_addc_co_u32_e32 v8, vcc, v8, v2, vcc
	v_mov_b32_e32 v10, s21
	v_add_co_u32_e32 v9, vcc, s20, v5
	v_mov_b32_e32 v4, 0x3ff00000
	v_addc_co_u32_e32 v10, vcc, v10, v6, vcc
	v_mov_b32_e32 v11, v3
	v_mov_b32_e32 v12, v3
	global_store_dwordx2 v[7:8], v[3:4], off offset:8
	global_store_dwordx2 v[9:10], v[11:12], off
	global_load_dwordx2 v[7:8], v[7:8], off offset:8
	v_cmp_lt_i64_e64 s[0:1], s[8:9], 3
	v_mov_b32_e32 v3, s23
	s_and_b64 vcc, exec, s[0:1]
	v_add_co_u32_e64 v9, s[0:1], s22, v5
	s_mul_i32 s37, s2, s9
	s_mul_hi_u32 s38, s2, s8
	s_mul_i32 s39, s3, s8
	s_mul_i32 s4, s2, s8
	v_addc_co_u32_e64 v10, s[0:1], v3, v6, s[0:1]
	s_waitcnt vmcnt(0)
	global_store_dwordx2 v[9:10], v[7:8], off
	s_cbranch_vccz .LBB0_3
; %bb.2:
	s_add_i32 s0, s38, s37
	s_add_i32 s5, s0, s39
	s_lshl_b64 s[0:1], s[4:5], 3
	s_add_u32 s0, s26, s0
	s_addc_u32 s1, s27, s1
	v_mov_b32_e32 v3, s1
	v_add_co_u32_e32 v7, vcc, s0, v1
	v_addc_co_u32_e32 v8, vcc, v3, v2, vcc
	v_mov_b32_e32 v3, 0
	global_store_dwordx2 v[7:8], v[3:4], off offset:8
	s_mov_b64 s[28:29], 0
.LBB0_3:
	s_andn2_b64 vcc, exec, s[28:29]
	s_cbranch_vccnz .LBB0_14
; %bb.4:
	s_lshl_b64 s[6:7], s[6:7], 11
	v_lshlrev_b32_e32 v16, 3, v0
	v_or_b32_e32 v7, s6, v16
	v_mov_b32_e32 v8, s7
	v_add_co_u32_e32 v13, vcc, 16, v7
	v_addc_co_u32_e32 v12, vcc, 0, v8, vcc
	v_mov_b32_e32 v7, s20
	v_mov_b32_e32 v8, s21
	v_mad_u64_u32 v[9:10], s[0:1], s8, v13, v[7:8]
	v_mul_lo_u32 v15, s8, v12
	v_mul_lo_u32 v17, s9, v13
	v_mov_b32_e32 v11, s21
	v_add_co_u32_e32 v7, vcc, s20, v5
	v_addc_co_u32_e32 v8, vcc, v11, v6, vcc
	v_add3_u32 v10, v17, v10, v15
	v_add_co_u32_e32 v11, vcc, -8, v9
	v_addc_co_u32_e32 v12, vcc, -1, v10, vcc
	v_mov_b32_e32 v9, s22
	v_mov_b32_e32 v10, s23
	v_mad_u64_u32 v[13:14], s[0:1], s8, v13, v[9:10]
	v_mov_b32_e32 v18, s23
	v_add_co_u32_e32 v9, vcc, s22, v5
	v_addc_co_u32_e32 v10, vcc, v18, v6, vcc
	v_add3_u32 v14, v17, v14, v15
	v_add_co_u32_e32 v13, vcc, -8, v13
	v_addc_co_u32_e32 v14, vcc, -1, v14, vcc
	v_cmp_lt_u64_e32 vcc, v[7:8], v[13:14]
	v_cmp_lt_u64_e64 s[0:1], v[9:10], v[11:12]
	v_fma_f64 v[3:4], s[16:17], 2.0, 1.0
	s_and_b64 s[30:31], vcc, s[0:1]
	s_add_u32 s5, s8, -3
	s_addc_u32 s34, s9, -1
	s_lshl_b64 s[28:29], s[8:9], 3
	s_sub_u32 s33, 0, s28
	s_subb_u32 s36, 0, s29
	s_add_u32 s0, s24, s6
	s_addc_u32 s1, s25, s7
	s_add_u32 s0, s0, s28
	s_addc_u32 s1, s1, s29
	v_cmp_lt_i64_e64 vcc, s[28:29], 0
	v_mov_b32_e32 v12, s1
	v_add_co_u32_e64 v11, s[0:1], s0, v16
	v_addc_co_u32_e64 v12, s[0:1], 0, v12, s[0:1]
	s_and_b64 s[0:1], vcc, exec
	s_cselect_b32 s35, s33, s28
	s_mul_i32 s42, s35, s34
	s_mul_hi_u32 s43, s35, s5
	s_cselect_b32 s0, s36, s29
	s_mul_hi_u32 s41, s35, s34
	s_add_u32 s44, s43, s42
	s_mul_i32 s40, s0, s5
	s_addc_u32 s41, 0, s41
	s_mul_hi_u32 s1, s0, s5
	s_add_u32 s44, s44, s40
	s_mul_hi_u32 s45, s0, s34
	s_addc_u32 s1, s41, s1
	s_addc_u32 s41, s45, 0
	s_mul_i32 s0, s0, s34
	s_add_u32 s0, s1, s0
	s_addc_u32 s1, 0, s41
	s_add_i32 s34, s43, s42
	s_add_i32 s40, s34, s40
	s_mul_i32 s5, s35, s5
	s_cmp_lg_u64 s[0:1], 0
	s_cselect_b64 s[34:35], -1, 0
	s_sub_u32 s41, 0, s5
	v_mov_b32_e32 v14, s40
	v_add_co_u32_e64 v13, s[0:1], s5, v11
	s_subb_u32 s42, 0, s40
	v_addc_co_u32_e64 v14, s[0:1], v12, v14, s[0:1]
	v_mov_b32_e32 v17, s42
	v_add_co_u32_e64 v16, s[0:1], s41, v11
	v_addc_co_u32_e64 v17, s[0:1], v12, v17, s[0:1]
	v_cmp_lt_u64_e64 s[0:1], v[13:14], v[11:12]
	v_mov_b32_e32 v15, 0
	v_cndmask_b32_e64 v18, 0, 1, s[0:1]
	v_cmp_gt_u64_e64 s[0:1], v[16:17], v[11:12]
	v_lshlrev_b32_e32 v0, 3, v0
	v_cndmask_b32_e64 v19, 0, 1, s[0:1]
	v_cndmask_b32_e32 v18, v18, v19, vcc
	v_and_b32_e32 v18, 1, v18
	v_cmp_eq_u32_e64 s[0:1], 1, v18
	s_or_b64 s[40:41], s[0:1], s[34:35]
	v_add_co_u32_e64 v18, s[0:1], 8, v11
	v_addc_co_u32_e64 v19, s[0:1], 0, v12, s[0:1]
	v_add_co_u32_e64 v20, s[0:1], 8, v16
	v_addc_co_u32_e64 v21, s[0:1], 0, v17, s[0:1]
	;; [unrolled: 2-line block ×3, first 2 shown]
	v_cmp_lt_u64_e64 s[0:1], v[22:23], v[18:19]
	v_cndmask_b32_e64 v22, 0, 1, s[0:1]
	v_cmp_gt_u64_e64 s[0:1], v[20:21], v[18:19]
	v_cndmask_b32_e64 v18, 0, 1, s[0:1]
	v_cndmask_b32_e32 v18, v22, v18, vcc
	v_and_b32_e32 v18, 1, v18
	v_cmp_eq_u32_e64 s[0:1], 1, v18
	s_or_b64 s[42:43], s[0:1], s[34:35]
	v_add_co_u32_e64 v11, s[0:1], 16, v11
	v_addc_co_u32_e64 v12, s[0:1], 0, v12, s[0:1]
	v_add_co_u32_e64 v13, s[0:1], 16, v13
	v_addc_co_u32_e64 v14, s[0:1], 0, v14, s[0:1]
	;; [unrolled: 2-line block ×3, first 2 shown]
	v_cmp_lt_u64_e64 s[0:1], v[13:14], v[11:12]
	v_cndmask_b32_e64 v13, 0, 1, s[0:1]
	v_cmp_gt_u64_e64 s[0:1], v[16:17], v[11:12]
	v_cndmask_b32_e64 v11, 0, 1, s[0:1]
	v_cndmask_b32_e32 v11, v13, v11, vcc
	v_and_b32_e32 v11, 1, v11
	v_cmp_eq_u32_e32 vcc, 1, v11
	s_or_b64 s[0:1], vcc, s[34:35]
	s_or_b64 s[34:35], s[40:41], s[42:43]
	s_or_b64 s[0:1], s[34:35], s[0:1]
	s_nor_b64 s[0:1], s[30:31], s[0:1]
                                        ; implicit-def: $sgpr30_sgpr31
	s_and_saveexec_b64 s[34:35], s[0:1]
	s_xor_b64 s[0:1], exec, s[34:35]
	s_cbranch_execz .LBB0_8
; %bb.5:
	global_load_dwordx2 v[11:12], v[7:8], off
	global_load_dwordx2 v[13:14], v[9:10], off
	v_add_co_u32_e32 v7, vcc, 8, v5
	s_add_u32 s30, s8, -2
	v_addc_co_u32_e32 v8, vcc, 0, v6, vcc
	s_addc_u32 s31, s9, -1
	v_mov_b32_e32 v6, s23
	v_add_co_u32_e32 v5, vcc, s22, v7
	s_add_u32 s5, s6, s28
	v_addc_co_u32_e32 v6, vcc, v6, v8, vcc
	s_addc_u32 s34, s7, s29
	v_mov_b32_e32 v9, s21
	v_add_co_u32_e32 v7, vcc, s20, v7
	s_add_u32 s5, s24, s5
	v_addc_co_u32_e32 v8, vcc, v9, v8, vcc
	s_addc_u32 s34, s25, s34
	v_mov_b32_e32 v9, s34
	v_add_co_u32_e32 v10, vcc, s5, v0
	v_addc_co_u32_e32 v16, vcc, 0, v9, vcc
	v_add_co_u32_e32 v9, vcc, 16, v10
	v_addc_co_u32_e32 v10, vcc, 0, v16, vcc
	s_mov_b64 s[34:35], s[30:31]
.LBB0_6:                                ; =>This Inner Loop Header: Depth=1
	v_mov_b32_e32 v17, s13
	v_mov_b32_e32 v16, s12
	s_waitcnt vmcnt(1)
	v_fma_f64 v[20:21], s[10:11], v[11:12], v[16:17]
	s_add_u32 s34, s34, -1
	s_addc_u32 s35, s35, -1
	s_cmp_eq_u64 s[34:35], 0
	v_div_scale_f64 v[11:12], s[40:41], v[20:21], v[20:21], -s[14:15]
	v_rcp_f64_e32 v[16:17], v[11:12]
	v_fma_f64 v[18:19], -v[11:12], v[16:17], 1.0
	v_fma_f64 v[16:17], v[16:17], v[18:19], v[16:17]
	v_div_scale_f64 v[18:19], vcc, -s[14:15], v[20:21], -s[14:15]
	v_fma_f64 v[22:23], -v[11:12], v[16:17], 1.0
	v_fma_f64 v[16:17], v[16:17], v[22:23], v[16:17]
	v_mul_f64 v[22:23], v[18:19], v[16:17]
	v_fma_f64 v[11:12], -v[11:12], v[22:23], v[18:19]
	v_div_fmas_f64 v[11:12], v[11:12], v[16:17], v[22:23]
	v_div_fixup_f64 v[11:12], v[11:12], v[20:21], -s[14:15]
	global_store_dwordx2 v[7:8], v[11:12], off
	global_load_dwordx4 v[16:19], v[9:10], off offset:-16
	global_load_dwordx2 v[22:23], v[9:10], off
	s_waitcnt vmcnt(1)
	v_mul_f64 v[16:17], s[16:17], v[16:17]
	v_fma_f64 v[16:17], v[3:4], v[18:19], -v[16:17]
	s_waitcnt vmcnt(0)
	v_fma_f64 v[16:17], -s[18:19], v[22:23], v[16:17]
	v_fma_f64 v[13:14], -s[10:11], v[13:14], v[16:17]
	v_div_scale_f64 v[16:17], s[40:41], v[20:21], v[20:21], v[13:14]
	v_rcp_f64_e32 v[18:19], v[16:17]
	v_fma_f64 v[22:23], -v[16:17], v[18:19], 1.0
	v_fma_f64 v[18:19], v[18:19], v[22:23], v[18:19]
	v_div_scale_f64 v[22:23], vcc, v[13:14], v[20:21], v[13:14]
	v_fma_f64 v[24:25], -v[16:17], v[18:19], 1.0
	v_fma_f64 v[18:19], v[18:19], v[24:25], v[18:19]
	v_mul_f64 v[24:25], v[22:23], v[18:19]
	v_fma_f64 v[16:17], -v[16:17], v[24:25], v[22:23]
	v_div_fmas_f64 v[16:17], v[16:17], v[18:19], v[24:25]
	v_add_co_u32_e32 v7, vcc, 8, v7
	v_addc_co_u32_e32 v8, vcc, 0, v8, vcc
	v_mov_b32_e32 v18, s29
	v_add_co_u32_e32 v9, vcc, s28, v9
	v_addc_co_u32_e32 v10, vcc, v10, v18, vcc
	v_div_fixup_f64 v[13:14], v[16:17], v[20:21], v[13:14]
	global_store_dwordx2 v[5:6], v[13:14], off
	v_add_co_u32_e32 v5, vcc, 8, v5
	v_addc_co_u32_e32 v6, vcc, 0, v6, vcc
	s_cbranch_scc0 .LBB0_6
; %bb.7:
                                        ; implicit-def: $vgpr3_vgpr4
                                        ; implicit-def: $vgpr5_vgpr6
.LBB0_8:
	s_or_saveexec_b64 s[0:1], s[0:1]
	v_mov_b32_e32 v7, s30
	v_mov_b32_e32 v8, s31
	s_xor_b64 exec, exec, s[0:1]
	s_cbranch_execz .LBB0_12
; %bb.9:
	s_add_u32 s5, s6, s28
	s_addc_u32 s30, s7, s29
	s_add_u32 s5, s24, s5
	s_addc_u32 s24, s25, s30
	v_mov_b32_e32 v7, s24
	v_add_co_u32_e32 v8, vcc, s5, v0
	v_addc_co_u32_e32 v9, vcc, 0, v7, vcc
	v_add_co_u32_e32 v7, vcc, 16, v8
	v_addc_co_u32_e32 v8, vcc, 0, v9, vcc
	;; [unrolled: 2-line block ×3, first 2 shown]
	v_mov_b32_e32 v6, s23
	v_add_co_u32_e32 v5, vcc, s22, v9
	v_addc_co_u32_e32 v6, vcc, v6, v10, vcc
	s_add_u32 s24, s8, -2
	s_addc_u32 s25, s9, -1
	v_mov_b32_e32 v11, s21
	v_add_co_u32_e32 v9, vcc, s20, v9
	v_mov_b32_e32 v15, 0
	v_addc_co_u32_e32 v10, vcc, v11, v10, vcc
	s_mov_b64 s[30:31], s[24:25]
.LBB0_10:                               ; =>This Inner Loop Header: Depth=1
	global_load_dwordx2 v[11:12], v[9:10], off offset:-8
	v_mov_b32_e32 v14, s13
	v_mov_b32_e32 v13, s12
	s_add_u32 s30, s30, -1
	s_addc_u32 s31, s31, -1
	s_cmp_eq_u64 s[30:31], 0
	s_waitcnt vmcnt(0)
	v_fma_f64 v[16:17], s[10:11], v[11:12], v[13:14]
	v_div_scale_f64 v[11:12], s[34:35], v[16:17], v[16:17], -s[14:15]
	v_rcp_f64_e32 v[13:14], v[11:12]
	v_fma_f64 v[18:19], -v[11:12], v[13:14], 1.0
	v_fma_f64 v[13:14], v[13:14], v[18:19], v[13:14]
	v_div_scale_f64 v[18:19], vcc, -s[14:15], v[16:17], -s[14:15]
	v_fma_f64 v[20:21], -v[11:12], v[13:14], 1.0
	v_fma_f64 v[13:14], v[13:14], v[20:21], v[13:14]
	v_mul_f64 v[20:21], v[18:19], v[13:14]
	v_fma_f64 v[11:12], -v[11:12], v[20:21], v[18:19]
	v_div_fmas_f64 v[11:12], v[11:12], v[13:14], v[20:21]
	v_div_fixup_f64 v[11:12], v[11:12], v[16:17], -s[14:15]
	global_store_dwordx2 v[9:10], v[11:12], off
	global_load_dwordx4 v[11:14], v[7:8], off offset:-16
	s_nop 0
	global_load_dwordx2 v[18:19], v[7:8], off
	global_load_dwordx2 v[20:21], v[5:6], off offset:-8
	s_waitcnt vmcnt(2)
	v_mul_f64 v[11:12], s[16:17], v[11:12]
	v_fma_f64 v[11:12], v[3:4], v[13:14], -v[11:12]
	s_waitcnt vmcnt(1)
	v_fma_f64 v[11:12], -s[18:19], v[18:19], v[11:12]
	s_waitcnt vmcnt(0)
	v_fma_f64 v[11:12], -s[10:11], v[20:21], v[11:12]
	v_div_scale_f64 v[13:14], s[34:35], v[16:17], v[16:17], v[11:12]
	v_rcp_f64_e32 v[18:19], v[13:14]
	v_fma_f64 v[20:21], -v[13:14], v[18:19], 1.0
	v_fma_f64 v[18:19], v[18:19], v[20:21], v[18:19]
	v_div_scale_f64 v[20:21], vcc, v[11:12], v[16:17], v[11:12]
	v_fma_f64 v[22:23], -v[13:14], v[18:19], 1.0
	v_fma_f64 v[18:19], v[18:19], v[22:23], v[18:19]
	v_mul_f64 v[22:23], v[20:21], v[18:19]
	v_fma_f64 v[13:14], -v[13:14], v[22:23], v[20:21]
	v_div_fmas_f64 v[13:14], v[13:14], v[18:19], v[22:23]
	v_add_co_u32_e32 v9, vcc, 8, v9
	v_addc_co_u32_e32 v10, vcc, 0, v10, vcc
	v_mov_b32_e32 v18, s29
	v_add_co_u32_e32 v7, vcc, s28, v7
	v_addc_co_u32_e32 v8, vcc, v8, v18, vcc
	v_div_fixup_f64 v[11:12], v[13:14], v[16:17], v[11:12]
	global_store_dwordx2 v[5:6], v[11:12], off
	v_add_co_u32_e32 v5, vcc, 8, v5
	v_addc_co_u32_e32 v6, vcc, 0, v6, vcc
	s_cbranch_scc0 .LBB0_10
; %bb.11:
	v_mov_b32_e32 v7, s24
	v_mov_b32_e32 v8, s25
.LBB0_12:
	s_or_b64 exec, exec, s[0:1]
	s_add_i32 s0, s38, s37
	s_add_i32 s5, s0, s39
	s_lshl_b64 s[0:1], s[4:5], 3
	s_add_u32 s4, s26, s0
	s_addc_u32 s5, s27, s1
	v_mov_b32_e32 v3, s5
	v_add_co_u32_e32 v1, vcc, s4, v1
	v_addc_co_u32_e32 v2, vcc, v3, v2, vcc
	v_mov_b32_e32 v3, s7
	v_add_co_u32_e32 v9, vcc, s6, v0
	v_addc_co_u32_e32 v10, vcc, v3, v15, vcc
	v_add_co_u32_e32 v0, vcc, 16, v9
	v_addc_co_u32_e32 v3, vcc, 0, v10, vcc
	v_mul_lo_u32 v11, s8, v3
	v_mul_lo_u32 v12, s9, v0
	v_mad_u64_u32 v[3:4], s[4:5], s8, v0, -16
	v_mov_b32_e32 v5, 0
	v_mov_b32_e32 v6, 0x3ff00000
	global_store_dwordx2 v[1:2], v[5:6], off offset:8
	v_add3_u32 v6, v12, v4, v11
	v_mov_b32_e32 v1, s23
	v_add_co_u32_e32 v0, vcc, s22, v3
	v_addc_co_u32_e32 v1, vcc, v1, v6, vcc
	v_mul_lo_u32 v12, s9, v7
	v_mul_lo_u32 v8, s8, v8
	v_mad_u64_u32 v[4:5], s[4:5], s8, v7, 0
	v_mov_b32_e32 v11, s21
	v_add_co_u32_e32 v2, vcc, s20, v3
	v_addc_co_u32_e32 v3, vcc, v11, v6, vcc
	v_mov_b32_e32 v6, s27
	v_add_co_u32_e32 v7, vcc, s26, v9
	v_add3_u32 v5, v5, v8, v12
	v_addc_co_u32_e32 v8, vcc, v6, v10, vcc
	v_lshlrev_b64 v[4:5], 3, v[4:5]
	v_add_co_u32_e32 v6, vcc, 8, v7
	v_addc_co_u32_e32 v7, vcc, 0, v8, vcc
.LBB0_13:                               ; =>This Inner Loop Header: Depth=1
	v_mov_b32_e32 v13, s1
	v_add_co_u32_e32 v12, vcc, s0, v6
	v_addc_co_u32_e32 v13, vcc, v7, v13, vcc
	global_load_dwordx2 v[8:9], v[2:3], off
	global_load_dwordx2 v[10:11], v[0:1], off
	v_add_co_u32_e32 v14, vcc, v6, v4
	global_load_dwordx2 v[12:13], v[12:13], off
	v_addc_co_u32_e32 v15, vcc, v7, v5, vcc
	v_add_co_u32_e32 v0, vcc, -8, v0
	v_addc_co_u32_e32 v1, vcc, -1, v1, vcc
	v_add_co_u32_e32 v2, vcc, -8, v2
	s_add_u32 s2, s2, -1
	v_addc_co_u32_e32 v3, vcc, -1, v3, vcc
	s_addc_u32 s3, s3, -1
	v_mov_b32_e32 v16, s36
	v_add_co_u32_e32 v6, vcc, s33, v6
	v_cmp_lt_u64_e64 s[4:5], s[2:3], 2
	v_addc_co_u32_e32 v7, vcc, v7, v16, vcc
	s_and_b64 vcc, exec, s[4:5]
	s_waitcnt vmcnt(0)
	v_fma_f64 v[8:9], v[8:9], v[12:13], v[10:11]
	global_store_dwordx2 v[14:15], v[8:9], off
	s_cbranch_vccz .LBB0_13
.LBB0_14:
	s_endpgm
	.section	.rodata,"a",@progbits
	.p2align	6, 0x0
	.amdhsa_kernel _ZN8rajaperf9polybench9poly_adi1ILm256EEEvldddddPdS2_S2_S2_
		.amdhsa_group_segment_fixed_size 0
		.amdhsa_private_segment_fixed_size 0
		.amdhsa_kernarg_size 80
		.amdhsa_user_sgpr_count 6
		.amdhsa_user_sgpr_private_segment_buffer 1
		.amdhsa_user_sgpr_dispatch_ptr 0
		.amdhsa_user_sgpr_queue_ptr 0
		.amdhsa_user_sgpr_kernarg_segment_ptr 1
		.amdhsa_user_sgpr_dispatch_id 0
		.amdhsa_user_sgpr_flat_scratch_init 0
		.amdhsa_user_sgpr_private_segment_size 0
		.amdhsa_uses_dynamic_stack 0
		.amdhsa_system_sgpr_private_segment_wavefront_offset 0
		.amdhsa_system_sgpr_workgroup_id_x 1
		.amdhsa_system_sgpr_workgroup_id_y 0
		.amdhsa_system_sgpr_workgroup_id_z 0
		.amdhsa_system_sgpr_workgroup_info 0
		.amdhsa_system_vgpr_workitem_id 0
		.amdhsa_next_free_vgpr 26
		.amdhsa_next_free_sgpr 46
		.amdhsa_reserve_vcc 1
		.amdhsa_reserve_flat_scratch 0
		.amdhsa_float_round_mode_32 0
		.amdhsa_float_round_mode_16_64 0
		.amdhsa_float_denorm_mode_32 3
		.amdhsa_float_denorm_mode_16_64 3
		.amdhsa_dx10_clamp 1
		.amdhsa_ieee_mode 1
		.amdhsa_fp16_overflow 0
		.amdhsa_exception_fp_ieee_invalid_op 0
		.amdhsa_exception_fp_denorm_src 0
		.amdhsa_exception_fp_ieee_div_zero 0
		.amdhsa_exception_fp_ieee_overflow 0
		.amdhsa_exception_fp_ieee_underflow 0
		.amdhsa_exception_fp_ieee_inexact 0
		.amdhsa_exception_int_div_zero 0
	.end_amdhsa_kernel
	.section	.text._ZN8rajaperf9polybench9poly_adi1ILm256EEEvldddddPdS2_S2_S2_,"axG",@progbits,_ZN8rajaperf9polybench9poly_adi1ILm256EEEvldddddPdS2_S2_S2_,comdat
.Lfunc_end0:
	.size	_ZN8rajaperf9polybench9poly_adi1ILm256EEEvldddddPdS2_S2_S2_, .Lfunc_end0-_ZN8rajaperf9polybench9poly_adi1ILm256EEEvldddddPdS2_S2_S2_
                                        ; -- End function
	.set _ZN8rajaperf9polybench9poly_adi1ILm256EEEvldddddPdS2_S2_S2_.num_vgpr, 26
	.set _ZN8rajaperf9polybench9poly_adi1ILm256EEEvldddddPdS2_S2_S2_.num_agpr, 0
	.set _ZN8rajaperf9polybench9poly_adi1ILm256EEEvldddddPdS2_S2_S2_.numbered_sgpr, 46
	.set _ZN8rajaperf9polybench9poly_adi1ILm256EEEvldddddPdS2_S2_S2_.num_named_barrier, 0
	.set _ZN8rajaperf9polybench9poly_adi1ILm256EEEvldddddPdS2_S2_S2_.private_seg_size, 0
	.set _ZN8rajaperf9polybench9poly_adi1ILm256EEEvldddddPdS2_S2_S2_.uses_vcc, 1
	.set _ZN8rajaperf9polybench9poly_adi1ILm256EEEvldddddPdS2_S2_S2_.uses_flat_scratch, 0
	.set _ZN8rajaperf9polybench9poly_adi1ILm256EEEvldddddPdS2_S2_S2_.has_dyn_sized_stack, 0
	.set _ZN8rajaperf9polybench9poly_adi1ILm256EEEvldddddPdS2_S2_S2_.has_recursion, 0
	.set _ZN8rajaperf9polybench9poly_adi1ILm256EEEvldddddPdS2_S2_S2_.has_indirect_call, 0
	.section	.AMDGPU.csdata,"",@progbits
; Kernel info:
; codeLenInByte = 2104
; TotalNumSgprs: 50
; NumVgprs: 26
; ScratchSize: 0
; MemoryBound: 0
; FloatMode: 240
; IeeeMode: 1
; LDSByteSize: 0 bytes/workgroup (compile time only)
; SGPRBlocks: 6
; VGPRBlocks: 6
; NumSGPRsForWavesPerEU: 50
; NumVGPRsForWavesPerEU: 26
; Occupancy: 9
; WaveLimiterHint : 0
; COMPUTE_PGM_RSRC2:SCRATCH_EN: 0
; COMPUTE_PGM_RSRC2:USER_SGPR: 6
; COMPUTE_PGM_RSRC2:TRAP_HANDLER: 0
; COMPUTE_PGM_RSRC2:TGID_X_EN: 1
; COMPUTE_PGM_RSRC2:TGID_Y_EN: 0
; COMPUTE_PGM_RSRC2:TGID_Z_EN: 0
; COMPUTE_PGM_RSRC2:TIDIG_COMP_CNT: 0
	.section	.text._ZN8rajaperf9polybench9poly_adi2ILm256EEEvldddddPdS2_S2_S2_,"axG",@progbits,_ZN8rajaperf9polybench9poly_adi2ILm256EEEvldddddPdS2_S2_S2_,comdat
	.protected	_ZN8rajaperf9polybench9poly_adi2ILm256EEEvldddddPdS2_S2_S2_ ; -- Begin function _ZN8rajaperf9polybench9poly_adi2ILm256EEEvldddddPdS2_S2_S2_
	.globl	_ZN8rajaperf9polybench9poly_adi2ILm256EEEvldddddPdS2_S2_S2_
	.p2align	8
	.type	_ZN8rajaperf9polybench9poly_adi2ILm256EEEvldddddPdS2_S2_S2_,@function
_ZN8rajaperf9polybench9poly_adi2ILm256EEEvldddddPdS2_S2_S2_: ; @_ZN8rajaperf9polybench9poly_adi2ILm256EEEvldddddPdS2_S2_S2_
; %bb.0:
	s_load_dwordx16 s[8:23], s[4:5], 0x0
	s_mov_b32 s7, 0
	s_lshl_b64 s[30:31], s[6:7], 8
	v_add_u32_e32 v1, 1, v0
	v_mov_b32_e32 v2, s31
	v_add_co_u32_e32 v1, vcc, s30, v1
	s_waitcnt lgkmcnt(0)
	s_add_u32 s28, s8, -1
	v_addc_co_u32_e32 v2, vcc, 0, v2, vcc
	s_addc_u32 s29, s9, -1
	v_cmp_gt_i64_e32 vcc, s[28:29], v[1:2]
	s_mov_b64 s[2:3], -1
	s_and_saveexec_b64 s[0:1], vcc
	s_cbranch_execz .LBB1_16
; %bb.1:
	v_mul_lo_u32 v2, v2, s8
	v_mul_lo_u32 v5, v1, s9
	v_mad_u64_u32 v[3:4], s[0:1], v1, s8, 0
	s_load_dwordx4 s[24:27], s[4:5], 0x40
	v_mov_b32_e32 v8, s21
	v_add3_u32 v4, v4, v5, v2
	v_lshlrev_b64 v[9:10], 3, v[3:4]
	v_mov_b32_e32 v5, 0
	s_waitcnt lgkmcnt(0)
	v_mov_b32_e32 v2, s25
	v_add_co_u32_e32 v1, vcc, s24, v9
	v_addc_co_u32_e32 v2, vcc, v2, v10, vcc
	v_add_co_u32_e32 v7, vcc, s20, v9
	v_mov_b32_e32 v6, 0x3ff00000
	v_addc_co_u32_e32 v8, vcc, v8, v10, vcc
	v_mov_b32_e32 v11, v5
	v_mov_b32_e32 v12, v5
	global_store_dwordx2 v[1:2], v[5:6], off
	global_store_dwordx2 v[7:8], v[11:12], off
	global_load_dwordx2 v[7:8], v[1:2], off
	v_cmp_lt_i64_e64 s[0:1], s[8:9], 3
	v_mov_b32_e32 v12, s23
	s_and_b64 vcc, exec, s[0:1]
	v_add_co_u32_e64 v11, s[0:1], s22, v9
	v_addc_co_u32_e64 v12, s[0:1], v12, v10, s[0:1]
	s_waitcnt vmcnt(0)
	global_store_dwordx2 v[11:12], v[7:8], off
	s_cbranch_vccz .LBB1_3
; %bb.2:
	s_lshl_b64 s[0:1], s[8:9], 3
	v_mov_b32_e32 v8, s1
	v_add_co_u32_e32 v7, vcc, s0, v1
	v_addc_co_u32_e32 v8, vcc, v2, v8, vcc
	global_store_dwordx2 v[7:8], v[5:6], off offset:-8
	s_mov_b64 s[2:3], 0
.LBB1_3:
	s_andn2_b64 vcc, exec, s[2:3]
	s_cbranch_vccnz .LBB1_16
; %bb.4:
	v_mov_b32_e32 v6, s9
	v_subrev_co_u32_e32 v5, vcc, s8, v3
	s_lshl_b64 s[4:5], s[6:7], 11
	v_subb_co_u32_e32 v6, vcc, v4, v6, vcc
	v_lshl_or_b32 v7, v0, 3, s4
	v_mov_b32_e32 v8, s5
	v_add_co_u32_e32 v15, vcc, 16, v7
	v_addc_co_u32_e32 v11, vcc, 0, v8, vcc
	v_mov_b32_e32 v7, s20
	v_mov_b32_e32 v8, s21
	v_mad_u64_u32 v[7:8], s[0:1], s8, v15, v[7:8]
	v_mul_lo_u32 v18, s8, v11
	v_mul_lo_u32 v19, s9, v15
	v_mov_b32_e32 v12, s21
	v_add_co_u32_e32 v11, vcc, s20, v9
	v_mov_b32_e32 v13, s22
	v_addc_co_u32_e32 v12, vcc, v12, v10, vcc
	v_mov_b32_e32 v14, s23
	v_add3_u32 v8, v19, v8, v18
	v_add_co_u32_e32 v7, vcc, -8, v7
	v_mad_u64_u32 v[15:16], s[0:1], s8, v15, v[13:14]
	v_addc_co_u32_e32 v8, vcc, -1, v8, vcc
	v_mov_b32_e32 v20, s23
	v_add_co_u32_e32 v13, vcc, s22, v9
	v_addc_co_u32_e32 v14, vcc, v20, v10, vcc
	v_add3_u32 v16, v19, v16, v18
	v_add_co_u32_e32 v15, vcc, -8, v15
	s_lshl_b64 s[2:3], s[8:9], 1
	v_addc_co_u32_e32 v16, vcc, -1, v16, vcc
	v_mov_b32_e32 v17, s3
	v_cmp_lt_u64_e32 vcc, v[11:12], v[15:16]
	v_add_co_u32_e64 v15, s[2:3], s2, v5
	v_cmp_lt_u64_e64 s[0:1], v[13:14], v[7:8]
	v_addc_co_u32_e64 v16, s[2:3], v6, v17, s[2:3]
	v_lshlrev_b64 v[5:6], 3, v[5:6]
	s_and_b64 s[34:35], vcc, s[0:1]
	v_mov_b32_e32 v7, s27
	v_add_co_u32_e32 v5, vcc, s26, v5
	s_add_u32 s6, s8, -3
	v_addc_co_u32_e32 v6, vcc, v7, v6, vcc
	s_addc_u32 s7, s9, -1
	v_add_co_u32_e32 v7, vcc, 8, v5
	v_addc_co_u32_e32 v8, vcc, 0, v6, vcc
	s_lshl_b64 s[2:3], s[6:7], 3
	v_mov_b32_e32 v19, s3
	v_add_co_u32_e32 v5, vcc, s2, v5
	v_addc_co_u32_e32 v6, vcc, v6, v19, vcc
	v_add_co_u32_e32 v5, vcc, 8, v5
	v_addc_co_u32_e32 v6, vcc, 0, v6, vcc
	v_cmp_lt_u64_e32 vcc, v[5:6], v[7:8]
	v_lshlrev_b64 v[5:6], 3, v[15:16]
	v_mov_b32_e32 v15, s27
	v_add_co_u32_e64 v20, s[0:1], s26, v5
	v_addc_co_u32_e64 v21, s[0:1], v15, v6, s[0:1]
	v_add_co_u32_e64 v15, s[0:1], 8, v20
	v_addc_co_u32_e64 v16, s[0:1], 0, v21, s[0:1]
	v_add_co_u32_e64 v20, s[0:1], s2, v20
	v_fma_f64 v[3:4], s[10:11], 2.0, 1.0
	v_addc_co_u32_e64 v21, s[0:1], v21, v19, s[0:1]
	v_add_co_u32_e64 v19, s[0:1], 8, v20
	v_addc_co_u32_e64 v20, s[0:1], 0, v21, s[0:1]
	v_mov_b32_e32 v17, -1
	v_bfrev_b32_e32 v18, -8
	v_cmp_lt_u64_e64 s[2:3], v[19:20], v[15:16]
	v_cmp_gt_u64_e64 s[0:1], s[6:7], v[17:18]
	s_or_b64 s[2:3], s[2:3], vcc
	s_or_b64 s[2:3], s[2:3], s[0:1]
	s_nor_b64 s[2:3], s[34:35], s[2:3]
	v_lshlrev_b32_e32 v23, 3, v0
	s_and_saveexec_b64 s[34:35], s[2:3]
	s_xor_b64 s[2:3], exec, s[34:35]
	s_cbranch_execz .LBB1_7
; %bb.5:
	global_load_dwordx2 v[15:16], v[11:12], off
	global_load_dwordx2 v[21:22], v[13:14], off
	v_add_co_u32_e32 v0, vcc, 8, v9
	v_addc_co_u32_e32 v18, vcc, 0, v10, vcc
	v_mov_b32_e32 v9, s23
	v_add_co_u32_e32 v11, vcc, s22, v0
	v_addc_co_u32_e32 v12, vcc, v9, v18, vcc
	v_mov_b32_e32 v9, s21
	;; [unrolled: 3-line block ×3, first 2 shown]
	v_add_co_u32_e32 v10, vcc, s4, v23
	v_addc_co_u32_e32 v9, vcc, 0, v9, vcc
	v_add_co_u32_e32 v17, vcc, 16, v10
	v_addc_co_u32_e32 v9, vcc, 0, v9, vcc
	v_mul_lo_u32 v20, s8, v9
	v_mov_b32_e32 v9, s26
	v_mov_b32_e32 v10, s27
	v_mul_lo_u32 v24, s9, v17
	v_mad_u64_u32 v[9:10], s[36:37], s8, v17, v[9:10]
	v_mov_b32_e32 v19, s27
	v_add_co_u32_e32 v17, vcc, s26, v0
	v_addc_co_u32_e32 v18, vcc, v19, v18, vcc
	s_add_u32 s34, s8, -2
	v_add3_u32 v0, v24, v10, v20
	v_add_co_u32_e32 v19, vcc, 8, v9
	s_addc_u32 s35, s9, -1
	v_addc_co_u32_e32 v20, vcc, 0, v0, vcc
                                        ; implicit-def: $vgpr0
.LBB1_6:                                ; =>This Inner Loop Header: Depth=1
	v_mov_b32_e32 v9, s16
	v_mov_b32_e32 v10, s17
	s_waitcnt vmcnt(1)
	v_fma_f64 v[24:25], s[14:15], v[15:16], v[9:10]
	s_add_u32 s34, s34, -1
	s_addc_u32 s35, s35, -1
	s_cmp_eq_u64 s[34:35], 0
	v_div_scale_f64 v[9:10], s[36:37], v[24:25], v[24:25], -s[18:19]
	v_rcp_f64_e32 v[15:16], v[9:10]
	v_fma_f64 v[26:27], -v[9:10], v[15:16], 1.0
	v_fma_f64 v[15:16], v[15:16], v[26:27], v[15:16]
	v_div_scale_f64 v[26:27], vcc, -s[18:19], v[24:25], -s[18:19]
	v_fma_f64 v[28:29], -v[9:10], v[15:16], 1.0
	v_fma_f64 v[15:16], v[15:16], v[28:29], v[15:16]
	v_mul_f64 v[28:29], v[26:27], v[15:16]
	v_fma_f64 v[9:10], -v[9:10], v[28:29], v[26:27]
	v_div_fmas_f64 v[9:10], v[9:10], v[15:16], v[28:29]
	v_div_fixup_f64 v[15:16], v[9:10], v[24:25], -s[18:19]
	global_store_dwordx2 v[13:14], v[15:16], off
	global_load_dwordx2 v[9:10], v[7:8], off
	global_load_dwordx2 v[26:27], v[17:18], off
	;; [unrolled: 1-line block ×3, first 2 shown]
	s_waitcnt vmcnt(2)
	v_mul_f64 v[9:10], s[10:11], v[9:10]
	s_waitcnt vmcnt(1)
	v_fma_f64 v[9:10], v[3:4], v[26:27], -v[9:10]
	s_waitcnt vmcnt(0)
	v_fma_f64 v[9:10], -s[12:13], v[28:29], v[9:10]
	v_fma_f64 v[21:22], -s[14:15], v[21:22], v[9:10]
	v_div_scale_f64 v[26:27], s[36:37], v[24:25], v[24:25], v[21:22]
	v_rcp_f64_e32 v[9:10], v[26:27]
	v_fma_f64 v[28:29], -v[26:27], v[9:10], 1.0
	v_fma_f64 v[9:10], v[9:10], v[28:29], v[9:10]
	v_div_scale_f64 v[28:29], vcc, v[21:22], v[24:25], v[21:22]
	v_fma_f64 v[30:31], -v[26:27], v[9:10], 1.0
	v_fma_f64 v[30:31], v[9:10], v[30:31], v[9:10]
                                        ; implicit-def: $vgpr9_vgpr10
	v_mul_f64 v[32:33], v[28:29], v[30:31]
	v_fma_f64 v[26:27], -v[26:27], v[32:33], v[28:29]
	v_div_fmas_f64 v[26:27], v[26:27], v[30:31], v[32:33]
	v_add_co_u32_e32 v13, vcc, 8, v13
	v_addc_co_u32_e32 v14, vcc, 0, v14, vcc
	v_add_co_u32_e32 v17, vcc, 8, v17
	v_addc_co_u32_e32 v18, vcc, 0, v18, vcc
	;; [unrolled: 2-line block ×4, first 2 shown]
	v_div_fixup_f64 v[21:22], v[26:27], v[24:25], v[21:22]
	global_store_dwordx2 v[11:12], v[21:22], off
	v_add_co_u32_e32 v11, vcc, 8, v11
	v_addc_co_u32_e32 v12, vcc, 0, v12, vcc
	s_cbranch_scc0 .LBB1_6
.LBB1_7:
	s_andn2_saveexec_b64 s[2:3], s[2:3]
	s_cbranch_execz .LBB1_10
; %bb.8:
	v_add_co_u32_e32 v17, vcc, 8, v9
	v_addc_co_u32_e32 v18, vcc, 0, v10, vcc
	v_mov_b32_e32 v8, s27
	v_add_co_u32_e32 v7, vcc, s26, v17
	v_addc_co_u32_e32 v8, vcc, v8, v18, vcc
	v_mov_b32_e32 v9, s31
	v_add_co_u32_e32 v0, vcc, s30, v0
	v_addc_co_u32_e32 v9, vcc, 0, v9, vcc
	v_mul_lo_u32 v13, s9, v0
	v_mul_lo_u32 v14, s8, v9
	v_mad_u64_u32 v[11:12], s[30:31], s8, v0, 0
	v_mov_b32_e32 v10, s23
	v_add_co_u32_e32 v9, vcc, s22, v17
	v_add3_u32 v12, v12, v14, v13
	v_lshlrev_b64 v[11:12], 3, v[11:12]
	v_addc_co_u32_e32 v10, vcc, v10, v18, vcc
	v_mov_b32_e32 v0, s27
	v_add_co_u32_e32 v11, vcc, s26, v11
	v_addc_co_u32_e32 v0, vcc, v0, v12, vcc
	v_add_co_u32_e32 v11, vcc, 8, v11
	v_addc_co_u32_e32 v12, vcc, 0, v0, vcc
	v_mov_b32_e32 v13, s5
	v_add_co_u32_e32 v14, vcc, s4, v23
	v_addc_co_u32_e32 v13, vcc, 0, v13, vcc
	v_add_co_u32_e32 v15, vcc, 16, v14
	v_addc_co_u32_e32 v13, vcc, 0, v13, vcc
	v_mul_lo_u32 v19, s8, v13
	v_mov_b32_e32 v13, s26
	v_mov_b32_e32 v14, s27
	v_mul_lo_u32 v20, s9, v15
	v_mad_u64_u32 v[15:16], s[26:27], s8, v15, v[13:14]
	v_mov_b32_e32 v0, s21
	v_add_co_u32_e32 v13, vcc, s20, v17
	v_addc_co_u32_e32 v14, vcc, v0, v18, vcc
	s_add_u32 s26, s8, -2
	v_add3_u32 v0, v20, v16, v19
	v_add_co_u32_e32 v15, vcc, 8, v15
	s_addc_u32 s27, s9, -1
	v_addc_co_u32_e32 v16, vcc, 0, v0, vcc
.LBB1_9:                                ; =>This Inner Loop Header: Depth=1
	global_load_dwordx2 v[17:18], v[13:14], off offset:-8
	v_mov_b32_e32 v20, s17
	v_mov_b32_e32 v19, s16
	s_add_u32 s26, s26, -1
	s_addc_u32 s27, s27, -1
	s_cmp_eq_u64 s[26:27], 0
	s_waitcnt vmcnt(0)
	v_fma_f64 v[17:18], s[14:15], v[17:18], v[19:20]
	v_div_scale_f64 v[19:20], s[30:31], v[17:18], v[17:18], -s[18:19]
	v_rcp_f64_e32 v[21:22], v[19:20]
	v_fma_f64 v[24:25], -v[19:20], v[21:22], 1.0
	v_fma_f64 v[21:22], v[21:22], v[24:25], v[21:22]
	v_div_scale_f64 v[24:25], vcc, -s[18:19], v[17:18], -s[18:19]
	v_fma_f64 v[26:27], -v[19:20], v[21:22], 1.0
	v_fma_f64 v[21:22], v[21:22], v[26:27], v[21:22]
	v_mul_f64 v[26:27], v[24:25], v[21:22]
	v_fma_f64 v[19:20], -v[19:20], v[26:27], v[24:25]
	v_div_fmas_f64 v[19:20], v[19:20], v[21:22], v[26:27]
	v_div_fixup_f64 v[19:20], v[19:20], v[17:18], -s[18:19]
	global_store_dwordx2 v[13:14], v[19:20], off
	global_load_dwordx2 v[19:20], v[11:12], off
	s_nop 0
	global_load_dwordx2 v[21:22], v[7:8], off
	global_load_dwordx2 v[24:25], v[15:16], off
	global_load_dwordx2 v[26:27], v[9:10], off offset:-8
	s_waitcnt vmcnt(3)
	v_mul_f64 v[19:20], s[10:11], v[19:20]
	s_waitcnt vmcnt(2)
	v_fma_f64 v[19:20], v[3:4], v[21:22], -v[19:20]
	s_waitcnt vmcnt(1)
	v_fma_f64 v[19:20], -s[12:13], v[24:25], v[19:20]
	s_waitcnt vmcnt(0)
	v_fma_f64 v[19:20], -s[14:15], v[26:27], v[19:20]
	v_div_scale_f64 v[21:22], s[30:31], v[17:18], v[17:18], v[19:20]
	v_rcp_f64_e32 v[24:25], v[21:22]
	v_fma_f64 v[26:27], -v[21:22], v[24:25], 1.0
	v_fma_f64 v[24:25], v[24:25], v[26:27], v[24:25]
	v_div_scale_f64 v[26:27], vcc, v[19:20], v[17:18], v[19:20]
	v_fma_f64 v[28:29], -v[21:22], v[24:25], 1.0
	v_fma_f64 v[24:25], v[24:25], v[28:29], v[24:25]
	v_mul_f64 v[28:29], v[26:27], v[24:25]
	v_fma_f64 v[21:22], -v[21:22], v[28:29], v[26:27]
	v_div_fmas_f64 v[21:22], v[21:22], v[24:25], v[28:29]
	v_add_co_u32_e32 v13, vcc, 8, v13
	v_addc_co_u32_e32 v14, vcc, 0, v14, vcc
	v_add_co_u32_e32 v7, vcc, 8, v7
	v_addc_co_u32_e32 v8, vcc, 0, v8, vcc
	;; [unrolled: 2-line block ×4, first 2 shown]
	v_div_fixup_f64 v[17:18], v[21:22], v[17:18], v[19:20]
	global_store_dwordx2 v[9:10], v[17:18], off
	v_add_co_u32_e32 v9, vcc, 8, v9
	v_addc_co_u32_e32 v10, vcc, 0, v10, vcc
	s_cbranch_scc0 .LBB1_9
.LBB1_10:
	s_or_b64 exec, exec, s[2:3]
	s_lshl_b64 s[2:3], s[8:9], 3
	v_mov_b32_e32 v3, s3
	v_add_co_u32_e32 v0, vcc, s2, v1
	v_addc_co_u32_e32 v1, vcc, v2, v3, vcc
	v_mov_b32_e32 v2, 0
	v_mov_b32_e32 v3, 0x3ff00000
	global_store_dwordx2 v[0:1], v[2:3], off offset:-8
	v_mov_b32_e32 v1, s25
	v_add_co_u32_e32 v0, vcc, s24, v5
	v_addc_co_u32_e32 v1, vcc, v1, v6, vcc
	v_mad_u64_u32 v[2:3], s[2:3], s6, -8, v[0:1]
	s_lshl_b32 s2, s7, 3
	v_add_co_u32_e32 v4, vcc, -16, v0
	v_subrev_u32_e32 v3, s2, v3
	v_add_co_u32_e64 v0, s[2:3], -8, v0
	v_addc_co_u32_e32 v5, vcc, -1, v1, vcc
	v_addc_co_u32_e64 v1, s[2:3], -1, v1, s[2:3]
	v_subrev_u32_e32 v3, s6, v3
	v_add_co_u32_e32 v6, vcc, -16, v2
	v_add_co_u32_e64 v2, s[2:3], -8, v2
	v_addc_co_u32_e32 v7, vcc, -1, v3, vcc
	v_addc_co_u32_e64 v3, s[2:3], -1, v3, s[2:3]
	v_cmp_le_u64_e64 s[2:3], v[2:3], v[0:1]
	v_cmp_le_u64_e32 vcc, v[6:7], v[4:5]
	s_xor_b64 s[0:1], s[0:1], -1
	s_and_b64 s[0:1], s[2:3], s[0:1]
	s_and_b64 s[0:1], vcc, s[0:1]
	s_and_saveexec_b64 s[2:3], s[0:1]
	s_xor_b64 s[2:3], exec, s[2:3]
	s_cbranch_execz .LBB1_13
; %bb.11:
	global_load_dwordx2 v[0:1], v[0:1], off
	v_mov_b32_e32 v2, s5
	v_add_co_u32_e32 v3, vcc, s4, v23
	v_addc_co_u32_e32 v2, vcc, 0, v2, vcc
	v_add_co_u32_e32 v3, vcc, 16, v3
	v_addc_co_u32_e32 v2, vcc, 0, v2, vcc
	v_mul_lo_u32 v2, s8, v2
	v_mul_lo_u32 v4, s9, v3
	v_mad_u64_u32 v[6:7], s[0:1], s8, v3, -16
	v_mov_b32_e32 v3, s23
	v_mov_b32_e32 v5, s25
	v_add3_u32 v7, v4, v7, v2
	v_add_co_u32_e32 v2, vcc, s22, v6
	v_addc_co_u32_e32 v3, vcc, v3, v7, vcc
	v_add_co_u32_e32 v4, vcc, s24, v6
	v_addc_co_u32_e32 v5, vcc, v5, v7, vcc
	v_mov_b32_e32 v8, s21
	v_add_co_u32_e32 v6, vcc, s20, v6
	v_addc_co_u32_e32 v7, vcc, v8, v7, vcc
	s_mov_b64 s[6:7], s[28:29]
                                        ; implicit-def: $vgpr23
.LBB1_12:                               ; =>This Inner Loop Header: Depth=1
	global_load_dwordx2 v[8:9], v[6:7], off
	global_load_dwordx2 v[10:11], v[2:3], off
	v_add_co_u32_e32 v2, vcc, -8, v2
	s_add_u32 s6, s6, -1
	v_addc_co_u32_e32 v3, vcc, -1, v3, vcc
	s_addc_u32 s7, s7, -1
	v_add_co_u32_e32 v6, vcc, -8, v6
	v_cmp_lt_u64_e64 s[0:1], s[6:7], 2
	v_addc_co_u32_e32 v7, vcc, -1, v7, vcc
	s_and_b64 vcc, exec, s[0:1]
	s_waitcnt vmcnt(0)
	v_fma_f64 v[0:1], v[8:9], v[0:1], v[10:11]
	global_store_dwordx2 v[4:5], v[0:1], off
	v_add_co_u32_e64 v4, s[0:1], -8, v4
	v_addc_co_u32_e64 v5, s[0:1], -1, v5, s[0:1]
	s_cbranch_vccz .LBB1_12
.LBB1_13:
	s_andn2_saveexec_b64 s[0:1], s[2:3]
	s_cbranch_execz .LBB1_16
; %bb.14:
	v_mov_b32_e32 v0, s5
	v_add_co_u32_e32 v1, vcc, s4, v23
	v_addc_co_u32_e32 v0, vcc, 0, v0, vcc
	v_add_co_u32_e32 v2, vcc, 16, v1
	v_addc_co_u32_e32 v0, vcc, 0, v0, vcc
	v_mul_lo_u32 v3, s8, v0
	v_mov_b32_e32 v0, s24
	v_mov_b32_e32 v1, s25
	v_mul_lo_u32 v6, s9, v2
	v_mad_u64_u32 v[4:5], s[0:1], s8, v2, v[0:1]
	v_mad_u64_u32 v[8:9], s[0:1], s8, v2, -16
	v_add3_u32 v5, v6, v5, v3
	global_load_dwordx2 v[0:1], v[4:5], off offset:-8
	v_add3_u32 v9, v6, v9, v3
	v_mov_b32_e32 v3, s23
	v_add_co_u32_e32 v2, vcc, s22, v8
	v_addc_co_u32_e32 v3, vcc, v3, v9, vcc
	v_add_co_u32_e32 v6, vcc, -8, v4
	v_addc_co_u32_e32 v7, vcc, -1, v5, vcc
	v_mov_b32_e32 v5, s21
	v_add_co_u32_e32 v4, vcc, s20, v8
	v_addc_co_u32_e32 v5, vcc, v5, v9, vcc
.LBB1_15:                               ; =>This Inner Loop Header: Depth=1
	global_load_dwordx2 v[8:9], v[4:5], off
	global_load_dwordx2 v[10:11], v[2:3], off
	v_add_co_u32_e32 v12, vcc, -8, v6
	v_addc_co_u32_e32 v13, vcc, -1, v7, vcc
	v_add_co_u32_e32 v2, vcc, -8, v2
	s_add_u32 s28, s28, -1
	v_addc_co_u32_e32 v3, vcc, -1, v3, vcc
	s_addc_u32 s29, s29, -1
	v_add_co_u32_e32 v4, vcc, -8, v4
	v_cmp_lt_u64_e64 s[0:1], s[28:29], 2
	v_addc_co_u32_e32 v5, vcc, -1, v5, vcc
	s_and_b64 vcc, exec, s[0:1]
	s_waitcnt vmcnt(0)
	v_fma_f64 v[0:1], v[8:9], v[0:1], v[10:11]
	global_store_dwordx2 v[6:7], v[0:1], off offset:-8
	v_mov_b32_e32 v6, v12
	v_mov_b32_e32 v7, v13
	s_cbranch_vccz .LBB1_15
.LBB1_16:
	s_endpgm
	.section	.rodata,"a",@progbits
	.p2align	6, 0x0
	.amdhsa_kernel _ZN8rajaperf9polybench9poly_adi2ILm256EEEvldddddPdS2_S2_S2_
		.amdhsa_group_segment_fixed_size 0
		.amdhsa_private_segment_fixed_size 0
		.amdhsa_kernarg_size 80
		.amdhsa_user_sgpr_count 6
		.amdhsa_user_sgpr_private_segment_buffer 1
		.amdhsa_user_sgpr_dispatch_ptr 0
		.amdhsa_user_sgpr_queue_ptr 0
		.amdhsa_user_sgpr_kernarg_segment_ptr 1
		.amdhsa_user_sgpr_dispatch_id 0
		.amdhsa_user_sgpr_flat_scratch_init 0
		.amdhsa_user_sgpr_private_segment_size 0
		.amdhsa_uses_dynamic_stack 0
		.amdhsa_system_sgpr_private_segment_wavefront_offset 0
		.amdhsa_system_sgpr_workgroup_id_x 1
		.amdhsa_system_sgpr_workgroup_id_y 0
		.amdhsa_system_sgpr_workgroup_id_z 0
		.amdhsa_system_sgpr_workgroup_info 0
		.amdhsa_system_vgpr_workitem_id 0
		.amdhsa_next_free_vgpr 34
		.amdhsa_next_free_sgpr 38
		.amdhsa_reserve_vcc 1
		.amdhsa_reserve_flat_scratch 0
		.amdhsa_float_round_mode_32 0
		.amdhsa_float_round_mode_16_64 0
		.amdhsa_float_denorm_mode_32 3
		.amdhsa_float_denorm_mode_16_64 3
		.amdhsa_dx10_clamp 1
		.amdhsa_ieee_mode 1
		.amdhsa_fp16_overflow 0
		.amdhsa_exception_fp_ieee_invalid_op 0
		.amdhsa_exception_fp_denorm_src 0
		.amdhsa_exception_fp_ieee_div_zero 0
		.amdhsa_exception_fp_ieee_overflow 0
		.amdhsa_exception_fp_ieee_underflow 0
		.amdhsa_exception_fp_ieee_inexact 0
		.amdhsa_exception_int_div_zero 0
	.end_amdhsa_kernel
	.section	.text._ZN8rajaperf9polybench9poly_adi2ILm256EEEvldddddPdS2_S2_S2_,"axG",@progbits,_ZN8rajaperf9polybench9poly_adi2ILm256EEEvldddddPdS2_S2_S2_,comdat
.Lfunc_end1:
	.size	_ZN8rajaperf9polybench9poly_adi2ILm256EEEvldddddPdS2_S2_S2_, .Lfunc_end1-_ZN8rajaperf9polybench9poly_adi2ILm256EEEvldddddPdS2_S2_S2_
                                        ; -- End function
	.set _ZN8rajaperf9polybench9poly_adi2ILm256EEEvldddddPdS2_S2_S2_.num_vgpr, 34
	.set _ZN8rajaperf9polybench9poly_adi2ILm256EEEvldddddPdS2_S2_S2_.num_agpr, 0
	.set _ZN8rajaperf9polybench9poly_adi2ILm256EEEvldddddPdS2_S2_S2_.numbered_sgpr, 38
	.set _ZN8rajaperf9polybench9poly_adi2ILm256EEEvldddddPdS2_S2_S2_.num_named_barrier, 0
	.set _ZN8rajaperf9polybench9poly_adi2ILm256EEEvldddddPdS2_S2_S2_.private_seg_size, 0
	.set _ZN8rajaperf9polybench9poly_adi2ILm256EEEvldddddPdS2_S2_S2_.uses_vcc, 1
	.set _ZN8rajaperf9polybench9poly_adi2ILm256EEEvldddddPdS2_S2_S2_.uses_flat_scratch, 0
	.set _ZN8rajaperf9polybench9poly_adi2ILm256EEEvldddddPdS2_S2_S2_.has_dyn_sized_stack, 0
	.set _ZN8rajaperf9polybench9poly_adi2ILm256EEEvldddddPdS2_S2_S2_.has_recursion, 0
	.set _ZN8rajaperf9polybench9poly_adi2ILm256EEEvldddddPdS2_S2_S2_.has_indirect_call, 0
	.section	.AMDGPU.csdata,"",@progbits
; Kernel info:
; codeLenInByte = 2228
; TotalNumSgprs: 42
; NumVgprs: 34
; ScratchSize: 0
; MemoryBound: 0
; FloatMode: 240
; IeeeMode: 1
; LDSByteSize: 0 bytes/workgroup (compile time only)
; SGPRBlocks: 5
; VGPRBlocks: 8
; NumSGPRsForWavesPerEU: 42
; NumVGPRsForWavesPerEU: 34
; Occupancy: 7
; WaveLimiterHint : 0
; COMPUTE_PGM_RSRC2:SCRATCH_EN: 0
; COMPUTE_PGM_RSRC2:USER_SGPR: 6
; COMPUTE_PGM_RSRC2:TRAP_HANDLER: 0
; COMPUTE_PGM_RSRC2:TGID_X_EN: 1
; COMPUTE_PGM_RSRC2:TGID_Y_EN: 0
; COMPUTE_PGM_RSRC2:TGID_Z_EN: 0
; COMPUTE_PGM_RSRC2:TIDIG_COMP_CNT: 0
	.section	.text._ZN8rajaperf9polybench12poly_adi_lamILm256EZNS0_13POLYBENCH_ADI17runHipVariantImplILm256EEEvNS_9VariantIDEEUllE_EEvlT0_,"axG",@progbits,_ZN8rajaperf9polybench12poly_adi_lamILm256EZNS0_13POLYBENCH_ADI17runHipVariantImplILm256EEEvNS_9VariantIDEEUllE_EEvlT0_,comdat
	.protected	_ZN8rajaperf9polybench12poly_adi_lamILm256EZNS0_13POLYBENCH_ADI17runHipVariantImplILm256EEEvNS_9VariantIDEEUllE_EEvlT0_ ; -- Begin function _ZN8rajaperf9polybench12poly_adi_lamILm256EZNS0_13POLYBENCH_ADI17runHipVariantImplILm256EEEvNS_9VariantIDEEUllE_EEvlT0_
	.globl	_ZN8rajaperf9polybench12poly_adi_lamILm256EZNS0_13POLYBENCH_ADI17runHipVariantImplILm256EEEvNS_9VariantIDEEUllE_EEvlT0_
	.p2align	8
	.type	_ZN8rajaperf9polybench12poly_adi_lamILm256EZNS0_13POLYBENCH_ADI17runHipVariantImplILm256EEEvNS_9VariantIDEEUllE_EEvlT0_,@function
_ZN8rajaperf9polybench12poly_adi_lamILm256EZNS0_13POLYBENCH_ADI17runHipVariantImplILm256EEEvNS_9VariantIDEEUllE_EEvlT0_: ; @_ZN8rajaperf9polybench12poly_adi_lamILm256EZNS0_13POLYBENCH_ADI17runHipVariantImplILm256EEEvNS_9VariantIDEEUllE_EEvlT0_
; %bb.0:
	s_load_dwordx16 s[16:31], s[4:5], 0x0
	s_mov_b32 s7, 0
	s_lshl_b64 s[0:1], s[6:7], 8
	v_add_u32_e32 v1, 1, v0
	v_mov_b32_e32 v2, s1
	v_add_co_u32_e32 v3, vcc, s0, v1
	s_waitcnt lgkmcnt(0)
	s_add_u32 s2, s16, -1
	v_addc_co_u32_e32 v4, vcc, 0, v2, vcc
	s_addc_u32 s3, s17, -1
	v_cmp_gt_i64_e32 vcc, s[2:3], v[3:4]
	v_mov_b32_e32 v5, 0
	s_and_saveexec_b64 s[2:3], vcc
	s_cbranch_execz .LBB2_14
; %bb.1:
	v_mov_b32_e32 v2, s1
	v_add_co_u32_e32 v1, vcc, s0, v0
	v_mul_lo_u32 v9, s21, v3
	v_mul_lo_u32 v10, s20, v4
	v_mad_u64_u32 v[3:4], s[0:1], s20, v3, 0
	v_addc_co_u32_e32 v2, vcc, 0, v2, vcc
	v_lshlrev_b64 v[1:2], 3, v[1:2]
	v_add3_u32 v4, v4, v10, v9
	v_mov_b32_e32 v6, s19
	v_add_co_u32_e32 v7, vcc, s18, v1
	v_lshlrev_b64 v[3:4], 3, v[3:4]
	v_addc_co_u32_e32 v8, vcc, v6, v2, vcc
	v_mov_b32_e32 v10, s23
	v_add_co_u32_e32 v9, vcc, s22, v3
	v_mov_b32_e32 v6, 0x3ff00000
	v_addc_co_u32_e32 v10, vcc, v10, v4, vcc
	v_mov_b32_e32 v11, v5
	v_mov_b32_e32 v12, v5
	global_store_dwordx2 v[7:8], v[5:6], off offset:8
	global_store_dwordx2 v[9:10], v[11:12], off
	global_load_dwordx2 v[7:8], v[7:8], off offset:8
	v_cmp_lt_i64_e64 s[0:1], s[20:21], 3
	s_add_u32 s34, s20, -1
	v_mov_b32_e32 v5, s25
	s_addc_u32 s35, s21, -1
	s_and_b64 vcc, exec, s[0:1]
	v_add_co_u32_e64 v9, s[0:1], s24, v3
	s_mov_b64 s[2:3], -1
	s_mul_i32 s33, s34, s21
	s_mul_hi_u32 s54, s34, s20
	s_mul_i32 s40, s34, s20
	s_mul_i32 s55, s35, s20
	v_addc_co_u32_e64 v10, s[0:1], v5, v4, s[0:1]
	s_waitcnt vmcnt(0)
	global_store_dwordx2 v[9:10], v[7:8], off
	s_cbranch_vccz .LBB2_3
; %bb.2:
	s_add_i32 s0, s54, s33
	s_add_i32 s41, s0, s55
	s_lshl_b64 s[0:1], s[40:41], 3
	s_add_u32 s0, s18, s0
	s_addc_u32 s1, s19, s1
	v_mov_b32_e32 v5, s1
	v_add_co_u32_e32 v7, vcc, s0, v1
	v_addc_co_u32_e32 v8, vcc, v5, v2, vcc
	v_mov_b32_e32 v5, 0
	global_store_dwordx2 v[7:8], v[5:6], off offset:8
	s_mov_b64 s[2:3], 0
.LBB2_3:
	s_andn2_b64 vcc, exec, s[2:3]
	s_cbranch_vccnz .LBB2_14
; %bb.4:
	s_lshl_b64 s[42:43], s[6:7], 11
	v_lshlrev_b32_e32 v19, 3, v0
	v_or_b32_e32 v5, s42, v19
	v_mov_b32_e32 v6, s43
	v_add_co_u32_e32 v11, vcc, 16, v5
	v_addc_co_u32_e32 v8, vcc, 0, v6, vcc
	v_mov_b32_e32 v5, s22
	v_mov_b32_e32 v6, s23
	v_mad_u64_u32 v[5:6], s[0:1], s20, v11, v[5:6]
	v_mul_lo_u32 v13, s20, v8
	v_mul_lo_u32 v14, s21, v11
	v_mov_b32_e32 v7, s23
	v_add_co_u32_e32 v9, vcc, s22, v3
	v_addc_co_u32_e32 v10, vcc, v7, v4, vcc
	v_mov_b32_e32 v7, s24
	v_mov_b32_e32 v8, s25
	v_add3_u32 v6, v14, v6, v13
	v_add_co_u32_e32 v5, vcc, -8, v5
	v_mad_u64_u32 v[7:8], s[0:1], s20, v11, v[7:8]
	v_addc_co_u32_e32 v6, vcc, -1, v6, vcc
	v_mov_b32_e32 v12, s25
	v_add_co_u32_e32 v11, vcc, s24, v3
	v_addc_co_u32_e32 v12, vcc, v12, v4, vcc
	v_add3_u32 v8, v14, v8, v13
	v_add_co_u32_e32 v7, vcc, -8, v7
	v_addc_co_u32_e32 v8, vcc, -1, v8, vcc
	v_cmp_lt_u64_e32 vcc, v[9:10], v[7:8]
	v_cmp_lt_u64_e64 s[0:1], v[11:12], v[5:6]
	s_load_dwordx4 s[36:39], s[4:5], 0x40
	s_and_b64 s[46:47], vcc, s[0:1]
	s_add_u32 s52, s20, -3
	s_addc_u32 s53, s21, -1
	v_add_co_u32_e32 v5, vcc, 8, v9
	v_addc_co_u32_e32 v6, vcc, 0, v10, vcc
	s_lshl_b64 s[0:1], s[52:53], 3
	v_mov_b32_e32 v16, s1
	v_add_co_u32_e32 v13, vcc, s0, v9
	v_addc_co_u32_e32 v14, vcc, v10, v16, vcc
	v_add_co_u32_e32 v7, vcc, 8, v13
	v_add_co_u32_e64 v15, s[0:1], s0, v11
	v_addc_co_u32_e32 v8, vcc, 0, v14, vcc
	v_addc_co_u32_e64 v16, s[0:1], v12, v16, s[0:1]
	v_cmp_lt_u64_e32 vcc, v[7:8], v[5:6]
	v_add_co_u32_e64 v7, s[0:1], 8, v11
	v_addc_co_u32_e64 v8, s[0:1], 0, v12, s[0:1]
	v_add_co_u32_e64 v17, s[0:1], 8, v15
	v_addc_co_u32_e64 v18, s[0:1], 0, v16, s[0:1]
	v_cmp_lt_u64_e64 s[0:1], v[17:18], v[7:8]
	s_lshl_b64 s[44:45], s[20:21], 3
	s_or_b64 s[48:49], s[0:1], vcc
	s_sub_u32 s56, 0, s44
	s_subb_u32 s57, 0, s45
	s_waitcnt lgkmcnt(0)
	s_add_u32 s0, s38, s42
	s_addc_u32 s1, s39, s43
	s_add_u32 s0, s0, s44
	v_cmp_lt_i64_e64 s[8:9], s[44:45], 0
	s_addc_u32 s1, s1, s45
	v_mov_b32_e32 v18, s1
	v_add_co_u32_e32 v17, vcc, s0, v19
	s_and_b64 s[0:1], s[8:9], exec
	s_cselect_b32 s2, s56, s44
	s_mul_i32 s7, s2, s53
	s_mul_hi_u32 s10, s2, s52
	s_cselect_b32 s0, s57, s45
	s_mul_hi_u32 s6, s2, s53
	s_add_u32 s11, s10, s7
	s_mul_i32 s3, s0, s52
	s_addc_u32 s6, 0, s6
	s_mul_hi_u32 s1, s0, s52
	s_add_u32 s11, s11, s3
	s_mul_hi_u32 s12, s0, s53
	s_addc_u32 s1, s6, s1
	s_addc_u32 s6, s12, 0
	s_mul_i32 s0, s0, s53
	s_add_u32 s0, s1, s0
	s_addc_u32 s1, 0, s6
	s_add_i32 s6, s10, s7
	v_addc_co_u32_e32 v18, vcc, 0, v18, vcc
	s_add_i32 s3, s6, s3
	s_mul_i32 s2, s2, s52
	v_mov_b32_e32 v20, s3
	v_add_co_u32_e32 v19, vcc, s2, v17
	v_addc_co_u32_e32 v20, vcc, v18, v20, vcc
	v_add_co_u32_e32 v21, vcc, 8, v17
	v_addc_co_u32_e32 v22, vcc, 0, v18, vcc
	s_cmp_lg_u64 s[0:1], 0
	v_add_co_u32_e32 v23, vcc, 8, v19
	s_cselect_b64 s[50:51], -1, 0
	s_sub_u32 s0, 0, s2
	v_addc_co_u32_e32 v24, vcc, 0, v20, vcc
	s_subb_u32 s1, 0, s3
	v_cmp_lt_u64_e64 s[6:7], v[23:24], v[21:22]
	v_mov_b32_e32 v24, s1
	v_add_co_u32_e32 v23, vcc, s0, v17
	v_addc_co_u32_e32 v24, vcc, v18, v24, vcc
	v_add_co_u32_e32 v25, vcc, 8, v23
	v_addc_co_u32_e32 v26, vcc, 0, v24, vcc
	v_cmp_lt_u64_e64 s[2:3], v[19:20], v[17:18]
	v_cmp_gt_u64_e64 s[12:13], v[23:24], v[17:18]
	v_add_co_u32_e32 v17, vcc, 16, v17
	v_addc_co_u32_e32 v18, vcc, 0, v18, vcc
	v_add_co_u32_e32 v19, vcc, 16, v19
	v_cmp_lt_u64_e64 s[0:1], v[13:14], v[9:10]
	v_cndmask_b32_e64 v13, 0, 1, s[2:3]
	v_cndmask_b32_e64 v14, 0, 1, s[12:13]
	v_cmp_gt_u64_e64 s[10:11], v[25:26], v[21:22]
	v_addc_co_u32_e32 v20, vcc, 0, v20, vcc
	v_cndmask_b32_e64 v13, v13, v14, s[8:9]
	v_add_co_u32_e32 v21, vcc, 16, v23
	v_and_b32_e32 v13, 1, v13
	v_addc_co_u32_e32 v22, vcc, 0, v24, vcc
	v_cmp_eq_u32_e64 s[2:3], 1, v13
	v_cndmask_b32_e64 v13, 0, 1, s[6:7]
	v_cndmask_b32_e64 v14, 0, 1, s[10:11]
	v_cmp_gt_u64_e64 s[14:15], v[21:22], v[17:18]
	v_cmp_lt_u64_e64 s[16:17], v[19:20], v[17:18]
	v_cndmask_b32_e64 v13, v13, v14, s[8:9]
	v_and_b32_e32 v13, 1, v13
	v_cmp_eq_u32_e64 s[6:7], 1, v13
	v_cndmask_b32_e64 v13, 0, 1, s[16:17]
	v_cndmask_b32_e64 v14, 0, 1, s[14:15]
	v_mov_b32_e32 v17, -1
	v_bfrev_b32_e32 v18, -8
	v_cndmask_b32_e64 v13, v13, v14, s[8:9]
	v_cmp_gt_u64_e32 vcc, s[52:53], v[17:18]
	v_and_b32_e32 v13, 1, v13
	v_cmp_eq_u32_e64 s[8:9], 1, v13
	v_fma_f64 v[13:14], s[36:37], 2.0, 1.0
	s_or_b64 s[12:13], s[48:49], vcc
	s_or_b64 s[2:3], s[2:3], s[50:51]
	s_or_b64 s[0:1], s[0:1], s[12:13]
	s_load_dwordx2 s[10:11], s[4:5], 0x50
	s_or_b64 s[6:7], s[6:7], s[50:51]
	s_or_b64 s[0:1], s[0:1], s[2:3]
	v_cmp_lt_u64_e64 s[4:5], v[15:16], v[11:12]
	s_or_b64 s[8:9], s[8:9], s[50:51]
	s_or_b64 s[0:1], s[0:1], s[6:7]
	;; [unrolled: 1-line block ×4, first 2 shown]
	s_nor_b64 s[0:1], s[46:47], s[0:1]
	v_lshlrev_b32_e32 v0, 3, v0
	v_mov_b32_e32 v17, 0
                                        ; implicit-def: $sgpr2_sgpr3
	s_and_saveexec_b64 s[4:5], s[0:1]
	s_xor_b64 s[0:1], exec, s[4:5]
	s_cbranch_execz .LBB2_8
; %bb.5:
	global_load_dwordx2 v[3:4], v[9:10], off
	global_load_dwordx2 v[15:16], v[11:12], off
	s_add_u32 s2, s20, -2
	s_addc_u32 s3, s21, -1
	s_add_u32 s4, s42, s44
	s_addc_u32 s5, s43, s45
	s_add_u32 s4, s38, s4
	s_addc_u32 s5, s39, s5
	v_mov_b32_e32 v9, s5
	v_add_co_u32_e32 v10, vcc, s4, v0
	v_addc_co_u32_e32 v11, vcc, 0, v9, vcc
	v_add_co_u32_e32 v9, vcc, 16, v10
	v_addc_co_u32_e32 v10, vcc, 0, v11, vcc
	s_mov_b64 s[4:5], s[2:3]
.LBB2_6:                                ; =>This Inner Loop Header: Depth=1
	v_mov_b32_e32 v11, s30
	v_mov_b32_e32 v12, s31
	s_waitcnt vmcnt(1)
	v_fma_f64 v[11:12], s[28:29], v[3:4], v[11:12]
	s_add_u32 s4, s4, -1
	s_addc_u32 s5, s5, -1
	s_cmp_eq_u64 s[4:5], 0
	v_div_scale_f64 v[3:4], s[6:7], v[11:12], v[11:12], -s[26:27]
	v_rcp_f64_e32 v[18:19], v[3:4]
	v_fma_f64 v[20:21], -v[3:4], v[18:19], 1.0
	v_fma_f64 v[18:19], v[18:19], v[20:21], v[18:19]
	v_div_scale_f64 v[20:21], vcc, -s[26:27], v[11:12], -s[26:27]
	v_fma_f64 v[22:23], -v[3:4], v[18:19], 1.0
	v_fma_f64 v[18:19], v[18:19], v[22:23], v[18:19]
	v_mul_f64 v[22:23], v[20:21], v[18:19]
	v_fma_f64 v[3:4], -v[3:4], v[22:23], v[20:21]
	v_div_fmas_f64 v[3:4], v[3:4], v[18:19], v[22:23]
	v_div_fixup_f64 v[3:4], v[3:4], v[11:12], -s[26:27]
	global_store_dwordx2 v[5:6], v[3:4], off
	global_load_dwordx4 v[18:21], v[9:10], off offset:-16
	global_load_dwordx2 v[22:23], v[9:10], off
	s_waitcnt vmcnt(1)
	v_mul_f64 v[18:19], s[36:37], v[18:19]
	v_fma_f64 v[18:19], v[13:14], v[20:21], -v[18:19]
	s_waitcnt vmcnt(0) lgkmcnt(0)
	v_fma_f64 v[18:19], -s[10:11], v[22:23], v[18:19]
	v_fma_f64 v[15:16], -s[28:29], v[15:16], v[18:19]
	v_div_scale_f64 v[18:19], s[6:7], v[11:12], v[11:12], v[15:16]
	v_rcp_f64_e32 v[20:21], v[18:19]
	v_fma_f64 v[22:23], -v[18:19], v[20:21], 1.0
	v_fma_f64 v[20:21], v[20:21], v[22:23], v[20:21]
	v_div_scale_f64 v[22:23], vcc, v[15:16], v[11:12], v[15:16]
	v_fma_f64 v[24:25], -v[18:19], v[20:21], 1.0
	v_fma_f64 v[20:21], v[20:21], v[24:25], v[20:21]
	v_mul_f64 v[24:25], v[22:23], v[20:21]
	v_fma_f64 v[18:19], -v[18:19], v[24:25], v[22:23]
	v_div_fmas_f64 v[18:19], v[18:19], v[20:21], v[24:25]
	v_add_co_u32_e32 v5, vcc, 8, v5
	v_addc_co_u32_e32 v6, vcc, 0, v6, vcc
	v_mov_b32_e32 v20, s45
	v_add_co_u32_e32 v9, vcc, s44, v9
	v_addc_co_u32_e32 v10, vcc, v10, v20, vcc
	v_div_fixup_f64 v[15:16], v[18:19], v[11:12], v[15:16]
	global_store_dwordx2 v[7:8], v[15:16], off
	v_add_co_u32_e32 v7, vcc, 8, v7
	v_addc_co_u32_e32 v8, vcc, 0, v8, vcc
	s_cbranch_scc0 .LBB2_6
; %bb.7:
                                        ; implicit-def: $vgpr13_vgpr14
                                        ; implicit-def: $vgpr3_vgpr4
.LBB2_8:
	s_or_saveexec_b64 s[0:1], s[0:1]
	v_mov_b32_e32 v6, s3
	v_mov_b32_e32 v5, s2
	s_xor_b64 exec, exec, s[0:1]
	s_cbranch_execz .LBB2_12
; %bb.9:
	s_add_u32 s2, s42, s44
	s_addc_u32 s3, s43, s45
	s_add_u32 s2, s38, s2
	s_addc_u32 s3, s39, s3
	v_mov_b32_e32 v5, s3
	v_add_co_u32_e32 v6, vcc, s2, v0
	v_addc_co_u32_e32 v7, vcc, 0, v5, vcc
	v_add_co_u32_e32 v5, vcc, 16, v6
	v_addc_co_u32_e32 v6, vcc, 0, v7, vcc
	;; [unrolled: 2-line block ×3, first 2 shown]
	v_mov_b32_e32 v4, s25
	v_add_co_u32_e32 v3, vcc, s24, v7
	v_addc_co_u32_e32 v4, vcc, v4, v8, vcc
	s_add_u32 s2, s20, -2
	s_addc_u32 s3, s21, -1
	v_mov_b32_e32 v9, s23
	v_add_co_u32_e32 v7, vcc, s22, v7
	v_mov_b32_e32 v17, 0
	v_addc_co_u32_e32 v8, vcc, v9, v8, vcc
	s_mov_b64 s[4:5], s[2:3]
.LBB2_10:                               ; =>This Inner Loop Header: Depth=1
	global_load_dwordx2 v[9:10], v[7:8], off offset:-8
	v_mov_b32_e32 v11, s30
	v_mov_b32_e32 v12, s31
	s_add_u32 s4, s4, -1
	s_addc_u32 s5, s5, -1
	s_cmp_eq_u64 s[4:5], 0
	s_waitcnt vmcnt(0)
	v_fma_f64 v[15:16], s[28:29], v[9:10], v[11:12]
	v_div_scale_f64 v[9:10], s[6:7], v[15:16], v[15:16], -s[26:27]
	v_rcp_f64_e32 v[11:12], v[9:10]
	v_fma_f64 v[18:19], -v[9:10], v[11:12], 1.0
	v_fma_f64 v[11:12], v[11:12], v[18:19], v[11:12]
	v_div_scale_f64 v[18:19], vcc, -s[26:27], v[15:16], -s[26:27]
	v_fma_f64 v[20:21], -v[9:10], v[11:12], 1.0
	v_fma_f64 v[11:12], v[11:12], v[20:21], v[11:12]
	v_mul_f64 v[20:21], v[18:19], v[11:12]
	v_fma_f64 v[9:10], -v[9:10], v[20:21], v[18:19]
	v_div_fmas_f64 v[9:10], v[9:10], v[11:12], v[20:21]
	v_div_fixup_f64 v[9:10], v[9:10], v[15:16], -s[26:27]
	global_store_dwordx2 v[7:8], v[9:10], off
	global_load_dwordx4 v[9:12], v[5:6], off offset:-16
	s_nop 0
	global_load_dwordx2 v[18:19], v[5:6], off
	global_load_dwordx2 v[20:21], v[3:4], off offset:-8
	s_waitcnt vmcnt(2)
	v_mul_f64 v[9:10], s[36:37], v[9:10]
	v_fma_f64 v[9:10], v[13:14], v[11:12], -v[9:10]
	s_waitcnt vmcnt(1) lgkmcnt(0)
	v_fma_f64 v[9:10], -s[10:11], v[18:19], v[9:10]
	s_waitcnt vmcnt(0)
	v_fma_f64 v[9:10], -s[28:29], v[20:21], v[9:10]
	v_div_scale_f64 v[11:12], s[6:7], v[15:16], v[15:16], v[9:10]
	v_rcp_f64_e32 v[18:19], v[11:12]
	v_fma_f64 v[20:21], -v[11:12], v[18:19], 1.0
	v_fma_f64 v[18:19], v[18:19], v[20:21], v[18:19]
	v_div_scale_f64 v[20:21], vcc, v[9:10], v[15:16], v[9:10]
	v_fma_f64 v[22:23], -v[11:12], v[18:19], 1.0
	v_fma_f64 v[18:19], v[18:19], v[22:23], v[18:19]
	v_mul_f64 v[22:23], v[20:21], v[18:19]
	v_fma_f64 v[11:12], -v[11:12], v[22:23], v[20:21]
	v_div_fmas_f64 v[11:12], v[11:12], v[18:19], v[22:23]
	v_add_co_u32_e32 v7, vcc, 8, v7
	v_addc_co_u32_e32 v8, vcc, 0, v8, vcc
	v_mov_b32_e32 v18, s45
	v_add_co_u32_e32 v5, vcc, s44, v5
	v_addc_co_u32_e32 v6, vcc, v6, v18, vcc
	v_div_fixup_f64 v[9:10], v[11:12], v[15:16], v[9:10]
	global_store_dwordx2 v[3:4], v[9:10], off
	v_add_co_u32_e32 v3, vcc, 8, v3
	v_addc_co_u32_e32 v4, vcc, 0, v4, vcc
	s_cbranch_scc0 .LBB2_10
; %bb.11:
	v_mov_b32_e32 v6, s3
	v_mov_b32_e32 v5, s2
.LBB2_12:
	s_or_b64 exec, exec, s[0:1]
	s_add_i32 s0, s54, s33
	s_add_i32 s41, s0, s55
	s_lshl_b64 s[0:1], s[40:41], 3
	s_add_u32 s2, s18, s0
	s_addc_u32 s3, s19, s1
	v_mov_b32_e32 v3, s3
	v_add_co_u32_e32 v1, vcc, s2, v1
	v_addc_co_u32_e32 v2, vcc, v3, v2, vcc
	v_mov_b32_e32 v3, s43
	v_add_co_u32_e32 v9, vcc, s42, v0
	v_addc_co_u32_e32 v10, vcc, v3, v17, vcc
	v_add_co_u32_e32 v0, vcc, 16, v9
	v_addc_co_u32_e32 v3, vcc, 0, v10, vcc
	v_mul_lo_u32 v11, s20, v3
	v_mul_lo_u32 v12, s21, v0
	v_mad_u64_u32 v[3:4], s[2:3], s20, v0, -16
	v_mov_b32_e32 v7, 0
	v_mov_b32_e32 v8, 0x3ff00000
	global_store_dwordx2 v[1:2], v[7:8], off offset:8
	v_add3_u32 v7, v12, v4, v11
	v_mov_b32_e32 v1, s25
	v_add_co_u32_e32 v0, vcc, s24, v3
	v_mul_lo_u32 v11, s21, v5
	v_mul_lo_u32 v6, s20, v6
	v_mad_u64_u32 v[4:5], s[2:3], s20, v5, 0
	v_addc_co_u32_e32 v1, vcc, v1, v7, vcc
	v_mov_b32_e32 v8, s23
	v_add_co_u32_e32 v2, vcc, s22, v3
	v_addc_co_u32_e32 v3, vcc, v8, v7, vcc
	v_add3_u32 v5, v5, v6, v11
	v_mov_b32_e32 v6, s19
	v_add_co_u32_e32 v7, vcc, s18, v9
	v_addc_co_u32_e32 v8, vcc, v6, v10, vcc
	v_lshlrev_b64 v[4:5], 3, v[4:5]
	v_add_co_u32_e32 v6, vcc, 8, v7
	v_addc_co_u32_e32 v7, vcc, 0, v8, vcc
.LBB2_13:                               ; =>This Inner Loop Header: Depth=1
	v_mov_b32_e32 v13, s1
	v_add_co_u32_e32 v12, vcc, s0, v6
	v_addc_co_u32_e32 v13, vcc, v7, v13, vcc
	global_load_dwordx2 v[8:9], v[2:3], off
	global_load_dwordx2 v[10:11], v[0:1], off
	v_add_co_u32_e32 v14, vcc, v6, v4
	global_load_dwordx2 v[12:13], v[12:13], off
	v_addc_co_u32_e32 v15, vcc, v7, v5, vcc
	v_add_co_u32_e32 v0, vcc, -8, v0
	v_addc_co_u32_e32 v1, vcc, -1, v1, vcc
	v_add_co_u32_e32 v2, vcc, -8, v2
	s_add_u32 s34, s34, -1
	v_addc_co_u32_e32 v3, vcc, -1, v3, vcc
	s_addc_u32 s35, s35, -1
	v_mov_b32_e32 v16, s57
	v_add_co_u32_e32 v6, vcc, s56, v6
	v_cmp_gt_u64_e64 s[2:3], s[34:35], 1
	v_addc_co_u32_e32 v7, vcc, v7, v16, vcc
	s_and_b64 vcc, exec, s[2:3]
	s_waitcnt vmcnt(0)
	v_fma_f64 v[8:9], v[8:9], v[12:13], v[10:11]
	global_store_dwordx2 v[14:15], v[8:9], off
	s_cbranch_vccnz .LBB2_13
.LBB2_14:
	s_endpgm
	.section	.rodata,"a",@progbits
	.p2align	6, 0x0
	.amdhsa_kernel _ZN8rajaperf9polybench12poly_adi_lamILm256EZNS0_13POLYBENCH_ADI17runHipVariantImplILm256EEEvNS_9VariantIDEEUllE_EEvlT0_
		.amdhsa_group_segment_fixed_size 0
		.amdhsa_private_segment_fixed_size 0
		.amdhsa_kernarg_size 88
		.amdhsa_user_sgpr_count 6
		.amdhsa_user_sgpr_private_segment_buffer 1
		.amdhsa_user_sgpr_dispatch_ptr 0
		.amdhsa_user_sgpr_queue_ptr 0
		.amdhsa_user_sgpr_kernarg_segment_ptr 1
		.amdhsa_user_sgpr_dispatch_id 0
		.amdhsa_user_sgpr_flat_scratch_init 0
		.amdhsa_user_sgpr_private_segment_size 0
		.amdhsa_uses_dynamic_stack 0
		.amdhsa_system_sgpr_private_segment_wavefront_offset 0
		.amdhsa_system_sgpr_workgroup_id_x 1
		.amdhsa_system_sgpr_workgroup_id_y 0
		.amdhsa_system_sgpr_workgroup_id_z 0
		.amdhsa_system_sgpr_workgroup_info 0
		.amdhsa_system_vgpr_workitem_id 0
		.amdhsa_next_free_vgpr 27
		.amdhsa_next_free_sgpr 58
		.amdhsa_reserve_vcc 1
		.amdhsa_reserve_flat_scratch 0
		.amdhsa_float_round_mode_32 0
		.amdhsa_float_round_mode_16_64 0
		.amdhsa_float_denorm_mode_32 3
		.amdhsa_float_denorm_mode_16_64 3
		.amdhsa_dx10_clamp 1
		.amdhsa_ieee_mode 1
		.amdhsa_fp16_overflow 0
		.amdhsa_exception_fp_ieee_invalid_op 0
		.amdhsa_exception_fp_denorm_src 0
		.amdhsa_exception_fp_ieee_div_zero 0
		.amdhsa_exception_fp_ieee_overflow 0
		.amdhsa_exception_fp_ieee_underflow 0
		.amdhsa_exception_fp_ieee_inexact 0
		.amdhsa_exception_int_div_zero 0
	.end_amdhsa_kernel
	.section	.text._ZN8rajaperf9polybench12poly_adi_lamILm256EZNS0_13POLYBENCH_ADI17runHipVariantImplILm256EEEvNS_9VariantIDEEUllE_EEvlT0_,"axG",@progbits,_ZN8rajaperf9polybench12poly_adi_lamILm256EZNS0_13POLYBENCH_ADI17runHipVariantImplILm256EEEvNS_9VariantIDEEUllE_EEvlT0_,comdat
.Lfunc_end2:
	.size	_ZN8rajaperf9polybench12poly_adi_lamILm256EZNS0_13POLYBENCH_ADI17runHipVariantImplILm256EEEvNS_9VariantIDEEUllE_EEvlT0_, .Lfunc_end2-_ZN8rajaperf9polybench12poly_adi_lamILm256EZNS0_13POLYBENCH_ADI17runHipVariantImplILm256EEEvNS_9VariantIDEEUllE_EEvlT0_
                                        ; -- End function
	.set _ZN8rajaperf9polybench12poly_adi_lamILm256EZNS0_13POLYBENCH_ADI17runHipVariantImplILm256EEEvNS_9VariantIDEEUllE_EEvlT0_.num_vgpr, 27
	.set _ZN8rajaperf9polybench12poly_adi_lamILm256EZNS0_13POLYBENCH_ADI17runHipVariantImplILm256EEEvNS_9VariantIDEEUllE_EEvlT0_.num_agpr, 0
	.set _ZN8rajaperf9polybench12poly_adi_lamILm256EZNS0_13POLYBENCH_ADI17runHipVariantImplILm256EEEvNS_9VariantIDEEUllE_EEvlT0_.numbered_sgpr, 58
	.set _ZN8rajaperf9polybench12poly_adi_lamILm256EZNS0_13POLYBENCH_ADI17runHipVariantImplILm256EEEvNS_9VariantIDEEUllE_EEvlT0_.num_named_barrier, 0
	.set _ZN8rajaperf9polybench12poly_adi_lamILm256EZNS0_13POLYBENCH_ADI17runHipVariantImplILm256EEEvNS_9VariantIDEEUllE_EEvlT0_.private_seg_size, 0
	.set _ZN8rajaperf9polybench12poly_adi_lamILm256EZNS0_13POLYBENCH_ADI17runHipVariantImplILm256EEEvNS_9VariantIDEEUllE_EEvlT0_.uses_vcc, 1
	.set _ZN8rajaperf9polybench12poly_adi_lamILm256EZNS0_13POLYBENCH_ADI17runHipVariantImplILm256EEEvNS_9VariantIDEEUllE_EEvlT0_.uses_flat_scratch, 0
	.set _ZN8rajaperf9polybench12poly_adi_lamILm256EZNS0_13POLYBENCH_ADI17runHipVariantImplILm256EEEvNS_9VariantIDEEUllE_EEvlT0_.has_dyn_sized_stack, 0
	.set _ZN8rajaperf9polybench12poly_adi_lamILm256EZNS0_13POLYBENCH_ADI17runHipVariantImplILm256EEEvNS_9VariantIDEEUllE_EEvlT0_.has_recursion, 0
	.set _ZN8rajaperf9polybench12poly_adi_lamILm256EZNS0_13POLYBENCH_ADI17runHipVariantImplILm256EEEvNS_9VariantIDEEUllE_EEvlT0_.has_indirect_call, 0
	.section	.AMDGPU.csdata,"",@progbits
; Kernel info:
; codeLenInByte = 2172
; TotalNumSgprs: 62
; NumVgprs: 27
; ScratchSize: 0
; MemoryBound: 0
; FloatMode: 240
; IeeeMode: 1
; LDSByteSize: 0 bytes/workgroup (compile time only)
; SGPRBlocks: 7
; VGPRBlocks: 6
; NumSGPRsForWavesPerEU: 62
; NumVGPRsForWavesPerEU: 27
; Occupancy: 9
; WaveLimiterHint : 0
; COMPUTE_PGM_RSRC2:SCRATCH_EN: 0
; COMPUTE_PGM_RSRC2:USER_SGPR: 6
; COMPUTE_PGM_RSRC2:TRAP_HANDLER: 0
; COMPUTE_PGM_RSRC2:TGID_X_EN: 1
; COMPUTE_PGM_RSRC2:TGID_Y_EN: 0
; COMPUTE_PGM_RSRC2:TGID_Z_EN: 0
; COMPUTE_PGM_RSRC2:TIDIG_COMP_CNT: 0
	.section	.text._ZN8rajaperf9polybench12poly_adi_lamILm256EZNS0_13POLYBENCH_ADI17runHipVariantImplILm256EEEvNS_9VariantIDEEUllE0_EEvlT0_,"axG",@progbits,_ZN8rajaperf9polybench12poly_adi_lamILm256EZNS0_13POLYBENCH_ADI17runHipVariantImplILm256EEEvNS_9VariantIDEEUllE0_EEvlT0_,comdat
	.protected	_ZN8rajaperf9polybench12poly_adi_lamILm256EZNS0_13POLYBENCH_ADI17runHipVariantImplILm256EEEvNS_9VariantIDEEUllE0_EEvlT0_ ; -- Begin function _ZN8rajaperf9polybench12poly_adi_lamILm256EZNS0_13POLYBENCH_ADI17runHipVariantImplILm256EEEvNS_9VariantIDEEUllE0_EEvlT0_
	.globl	_ZN8rajaperf9polybench12poly_adi_lamILm256EZNS0_13POLYBENCH_ADI17runHipVariantImplILm256EEEvNS_9VariantIDEEUllE0_EEvlT0_
	.p2align	8
	.type	_ZN8rajaperf9polybench12poly_adi_lamILm256EZNS0_13POLYBENCH_ADI17runHipVariantImplILm256EEEvNS_9VariantIDEEUllE0_EEvlT0_,@function
_ZN8rajaperf9polybench12poly_adi_lamILm256EZNS0_13POLYBENCH_ADI17runHipVariantImplILm256EEEvNS_9VariantIDEEUllE0_EEvlT0_: ; @_ZN8rajaperf9polybench12poly_adi_lamILm256EZNS0_13POLYBENCH_ADI17runHipVariantImplILm256EEEvNS_9VariantIDEEUllE0_EEvlT0_
; %bb.0:
	s_load_dwordx16 s[12:27], s[4:5], 0x0
	s_mov_b32 s7, 0
	s_lshl_b64 s[34:35], s[6:7], 8
	v_add_u32_e32 v1, 1, v0
	v_mov_b32_e32 v2, s35
	v_add_co_u32_e32 v7, vcc, s34, v1
	s_waitcnt lgkmcnt(0)
	s_add_u32 s0, s12, -1
	v_addc_co_u32_e32 v8, vcc, 0, v2, vcc
	s_addc_u32 s1, s13, -1
	v_cmp_gt_i64_e32 vcc, s[0:1], v[7:8]
	s_mov_b64 s[2:3], -1
	s_and_saveexec_b64 s[0:1], vcc
	s_cbranch_execz .LBB3_18
; %bb.1:
	v_mul_lo_u32 v1, s17, v7
	v_mul_lo_u32 v2, s16, v8
	v_mad_u64_u32 v[3:4], s[0:1], s16, v7, 0
	v_mov_b32_e32 v9, 0
	v_mov_b32_e32 v10, 0x3ff00000
	v_add3_u32 v4, v4, v2, v1
	v_lshlrev_b64 v[5:6], 3, v[3:4]
	v_mov_b32_e32 v2, s15
	v_add_co_u32_e32 v1, vcc, s14, v5
	v_addc_co_u32_e32 v2, vcc, v2, v6, vcc
	global_store_dwordx2 v[1:2], v[9:10], off
	v_mov_b32_e32 v10, s19
	v_add_co_u32_e32 v11, vcc, s18, v5
	v_addc_co_u32_e32 v12, vcc, v10, v6, vcc
	v_mov_b32_e32 v10, v9
	global_store_dwordx2 v[11:12], v[9:10], off
	global_load_dwordx2 v[9:10], v[1:2], off
	v_cmp_gt_i64_e64 s[12:13], s[16:17], 2
	v_mov_b32_e32 v12, s21
	v_add_co_u32_e64 v11, s[0:1], s20, v5
	s_and_b64 vcc, exec, s[12:13]
	v_addc_co_u32_e64 v12, s[0:1], v12, v6, s[0:1]
                                        ; implicit-def: $vgpr1_vgpr2
	s_waitcnt vmcnt(0)
	global_store_dwordx2 v[11:12], v[9:10], off
	s_cbranch_vccnz .LBB3_3
; %bb.2:
	v_mov_b32_e32 v1, s16
	v_mov_b32_e32 v2, s17
	v_mul_lo_u32 v8, s16, v8
	v_mul_lo_u32 v9, s17, v7
	v_mad_u64_u32 v[1:2], s[0:1], s16, v7, v[1:2]
	s_mov_b64 s[2:3], 0
	v_add3_u32 v2, v9, v2, v8
.LBB3_3:
	s_andn2_b64 vcc, exec, s[2:3]
	s_cbranch_vccnz .LBB3_11
; %bb.4:
	s_lshl_b64 s[2:3], s[16:17], 1
	s_add_u32 s38, s16, -2
	v_mov_b32_e32 v1, s17
	v_subrev_co_u32_e32 v3, vcc, s16, v3
	s_addc_u32 s39, s17, -1
	s_lshl_b64 s[40:41], s[6:7], 11
	v_subb_co_u32_e32 v4, vcc, v4, v1, vcc
	v_lshl_or_b32 v1, v0, 3, s40
	v_mov_b32_e32 v2, s41
	v_add_co_u32_e32 v10, vcc, 16, v1
	v_addc_co_u32_e32 v8, vcc, 0, v2, vcc
	v_mov_b32_e32 v1, s18
	v_mov_b32_e32 v2, s19
	v_mad_u64_u32 v[1:2], s[0:1], s16, v10, v[1:2]
	v_mul_lo_u32 v11, s16, v8
	v_mul_lo_u32 v12, s17, v10
	v_mov_b32_e32 v7, s19
	v_add_co_u32_e32 v13, vcc, s18, v5
	v_addc_co_u32_e32 v14, vcc, v7, v6, vcc
	v_mov_b32_e32 v7, s20
	v_mov_b32_e32 v8, s21
	v_add3_u32 v2, v12, v2, v11
	v_add_co_u32_e32 v1, vcc, -8, v1
	v_mad_u64_u32 v[7:8], s[0:1], s16, v10, v[7:8]
	v_addc_co_u32_e32 v2, vcc, -1, v2, vcc
	v_mov_b32_e32 v15, s21
	v_add_co_u32_e32 v19, vcc, s20, v5
	v_addc_co_u32_e32 v20, vcc, v15, v6, vcc
	v_add3_u32 v8, v12, v8, v11
	v_add_co_u32_e32 v7, vcc, -8, v7
	v_addc_co_u32_e32 v8, vcc, -1, v8, vcc
	s_load_dwordx4 s[28:31], s[4:5], 0x40
	s_load_dwordx2 s[36:37], s[4:5], 0x50
	v_mov_b32_e32 v9, s3
	v_cmp_lt_u64_e32 vcc, v[13:14], v[7:8]
	v_cmp_lt_u64_e64 s[0:1], v[19:20], v[1:2]
	v_add_co_u32_e64 v1, s[2:3], s2, v3
	v_addc_co_u32_e64 v2, s[2:3], v4, v9, s[2:3]
	s_and_b64 s[42:43], vcc, s[0:1]
	v_add_co_u32_e32 v7, vcc, 8, v13
	v_lshlrev_b64 v[9:10], 3, v[1:2]
	v_addc_co_u32_e32 v8, vcc, 0, v14, vcc
	s_waitcnt lgkmcnt(0)
	v_mov_b32_e32 v11, s31
	v_add_co_u32_e32 v12, vcc, s30, v9
	s_add_u32 s2, s16, -3
	v_addc_co_u32_e32 v11, vcc, v11, v10, vcc
	s_addc_u32 s3, s17, -1
	v_add_co_u32_e32 v9, vcc, 8, v12
	s_lshl_b64 s[44:45], s[2:3], 3
	v_addc_co_u32_e32 v10, vcc, 0, v11, vcc
	v_mov_b32_e32 v21, s45
	v_add_co_u32_e32 v12, vcc, s44, v12
	v_addc_co_u32_e32 v15, vcc, v11, v21, vcc
	v_add_co_u32_e32 v11, vcc, 8, v12
	v_addc_co_u32_e32 v12, vcc, 0, v15, vcc
	v_cmp_lt_u64_e32 vcc, v[11:12], v[9:10]
	v_add_co_u32_e64 v11, s[0:1], s44, v13
	v_addc_co_u32_e64 v12, s[0:1], v14, v21, s[0:1]
	v_add_co_u32_e64 v9, s[0:1], 8, v11
	v_lshlrev_b64 v[3:4], 3, v[3:4]
	v_addc_co_u32_e64 v10, s[0:1], 0, v12, s[0:1]
	v_cmp_lt_u64_e64 s[0:1], v[9:10], v[7:8]
	v_mov_b32_e32 v9, -1
	v_bfrev_b32_e32 v10, -8
	v_cmp_lt_u64_e64 s[8:9], v[11:12], v[13:14]
	v_mov_b32_e32 v11, s31
	v_add_co_u32_e64 v3, s[10:11], s30, v3
	v_cmp_gt_u64_e64 s[2:3], s[2:3], v[9:10]
	v_add_co_u32_e64 v9, s[4:5], 8, v19
	v_addc_co_u32_e64 v4, s[10:11], v11, v4, s[10:11]
	v_addc_co_u32_e64 v10, s[4:5], 0, v20, s[4:5]
	v_add_co_u32_e64 v11, s[10:11], 8, v3
	v_add_co_u32_e64 v15, s[4:5], s44, v19
	v_addc_co_u32_e64 v12, s[10:11], 0, v4, s[10:11]
	v_addc_co_u32_e64 v16, s[4:5], v20, v21, s[4:5]
	v_add_co_u32_e64 v3, s[10:11], s44, v3
	;; [unrolled: 4-line block ×3, first 2 shown]
	v_cmp_lt_u64_e64 s[4:5], v[17:18], v[9:10]
	v_addc_co_u32_e64 v4, s[10:11], 0, v4, s[10:11]
	v_cmp_lt_u64_e64 s[10:11], v[3:4], v[11:12]
	v_fma_f64 v[3:4], s[28:29], 2.0, 1.0
	s_or_b64 s[4:5], s[4:5], s[0:1]
	s_or_b64 s[2:3], s[4:5], s[2:3]
	s_or_b64 s[2:3], s[8:9], s[2:3]
	v_cmp_lt_u64_e64 s[0:1], v[15:16], v[19:20]
	s_or_b64 s[2:3], s[10:11], s[2:3]
	s_or_b64 s[2:3], vcc, s[2:3]
	s_or_b64 s[0:1], s[0:1], s[2:3]
	s_nor_b64 s[0:1], s[42:43], s[0:1]
	v_lshlrev_b32_e32 v21, 3, v0
	s_and_saveexec_b64 s[2:3], s[0:1]
	s_xor_b64 s[0:1], exec, s[2:3]
	s_cbranch_execz .LBB3_7
; %bb.5:
	global_load_dwordx2 v[15:16], v[13:14], off
	global_load_dwordx2 v[17:18], v[19:20], off
	v_mov_b32_e32 v13, s41
	v_add_co_u32_e32 v14, vcc, s40, v21
	v_addc_co_u32_e32 v13, vcc, 0, v13, vcc
	v_add_co_u32_e32 v19, vcc, 16, v14
	v_addc_co_u32_e32 v13, vcc, 0, v13, vcc
	v_mul_lo_u32 v20, s16, v13
	v_mov_b32_e32 v13, s30
	v_mov_b32_e32 v14, s31
	v_mul_lo_u32 v21, s17, v19
	v_mad_u64_u32 v[13:14], s[2:3], s16, v19, v[13:14]
	v_mov_b32_e32 v19, s31
	s_mov_b64 s[2:3], s[38:39]
	v_add3_u32 v14, v21, v14, v20
	v_add_co_u32_e32 v13, vcc, 8, v13
	v_addc_co_u32_e32 v14, vcc, 0, v14, vcc
	v_add_co_u32_e32 v5, vcc, s30, v5
	v_addc_co_u32_e32 v6, vcc, v19, v6, vcc
	;; [unrolled: 2-line block ×3, first 2 shown]
.LBB3_6:                                ; =>This Inner Loop Header: Depth=1
	v_mov_b32_e32 v5, s26
	v_mov_b32_e32 v6, s27
	s_waitcnt vmcnt(1)
	v_fma_f64 v[5:6], s[24:25], v[15:16], v[5:6]
	s_add_u32 s2, s2, -1
	s_addc_u32 s3, s3, -1
	s_cmp_eq_u64 s[2:3], 0
	v_div_scale_f64 v[15:16], s[4:5], v[5:6], v[5:6], -s[22:23]
	v_rcp_f64_e32 v[21:22], v[15:16]
	v_fma_f64 v[23:24], -v[15:16], v[21:22], 1.0
	v_fma_f64 v[21:22], v[21:22], v[23:24], v[21:22]
	v_fma_f64 v[23:24], -v[15:16], v[21:22], 1.0
	v_fma_f64 v[21:22], v[21:22], v[23:24], v[21:22]
	v_div_scale_f64 v[23:24], vcc, -s[22:23], v[5:6], -s[22:23]
	v_mul_f64 v[25:26], v[23:24], v[21:22]
	v_fma_f64 v[15:16], -v[15:16], v[25:26], v[23:24]
	s_nop 1
	v_div_fmas_f64 v[15:16], v[15:16], v[21:22], v[25:26]
	v_div_fixup_f64 v[15:16], v[15:16], v[5:6], -s[22:23]
	global_store_dwordx2 v[7:8], v[15:16], off
	global_load_dwordx2 v[21:22], v[11:12], off
	global_load_dwordx2 v[23:24], v[19:20], off
	s_waitcnt vmcnt(1)
	v_mul_f64 v[21:22], s[28:29], v[21:22]
	s_waitcnt vmcnt(0)
	v_fma_f64 v[21:22], v[3:4], v[23:24], -v[21:22]
	global_load_dwordx2 v[23:24], v[13:14], off
	s_waitcnt vmcnt(0)
	v_fma_f64 v[21:22], -s[36:37], v[23:24], v[21:22]
	v_fma_f64 v[17:18], -s[24:25], v[17:18], v[21:22]
	v_div_scale_f64 v[21:22], s[4:5], v[5:6], v[5:6], v[17:18]
	v_rcp_f64_e32 v[23:24], v[21:22]
	v_fma_f64 v[25:26], -v[21:22], v[23:24], 1.0
	v_fma_f64 v[23:24], v[23:24], v[25:26], v[23:24]
	v_fma_f64 v[25:26], -v[21:22], v[23:24], 1.0
	v_fma_f64 v[23:24], v[23:24], v[25:26], v[23:24]
	v_div_scale_f64 v[25:26], vcc, v[17:18], v[5:6], v[17:18]
	v_mul_f64 v[27:28], v[25:26], v[23:24]
	v_fma_f64 v[21:22], -v[21:22], v[27:28], v[25:26]
	s_nop 1
	v_div_fmas_f64 v[21:22], v[21:22], v[23:24], v[27:28]
	v_div_fixup_f64 v[17:18], v[21:22], v[5:6], v[17:18]
                                        ; implicit-def: $vgpr5_vgpr6
                                        ; implicit-def: $vgpr21
	global_store_dwordx2 v[9:10], v[17:18], off
	v_add_co_u32_e32 v9, vcc, 8, v9
	v_addc_co_u32_e32 v10, vcc, 0, v10, vcc
	v_add_co_u32_e32 v7, vcc, 8, v7
	v_addc_co_u32_e32 v8, vcc, 0, v8, vcc
	;; [unrolled: 2-line block ×5, first 2 shown]
	s_cbranch_scc0 .LBB3_6
.LBB3_7:
	s_andn2_saveexec_b64 s[0:1], s[0:1]
	s_cbranch_execz .LBB3_10
; %bb.8:
	v_add_co_u32_e32 v15, vcc, 8, v5
	v_addc_co_u32_e32 v16, vcc, 0, v6, vcc
	v_mov_b32_e32 v6, s31
	v_add_co_u32_e32 v5, vcc, s30, v15
	v_addc_co_u32_e32 v6, vcc, v6, v16, vcc
	v_mov_b32_e32 v7, s35
	v_add_co_u32_e32 v9, vcc, s34, v0
	v_addc_co_u32_e32 v7, vcc, 0, v7, vcc
	v_mul_lo_u32 v11, s17, v9
	v_mul_lo_u32 v12, s16, v7
	v_mad_u64_u32 v[9:10], s[2:3], s16, v9, 0
	v_mov_b32_e32 v8, s21
	v_add_co_u32_e32 v7, vcc, s20, v15
	v_add3_u32 v10, v10, v12, v11
	v_lshlrev_b64 v[9:10], 3, v[9:10]
	v_addc_co_u32_e32 v8, vcc, v8, v16, vcc
	v_mov_b32_e32 v11, s31
	v_add_co_u32_e32 v9, vcc, s30, v9
	v_addc_co_u32_e32 v10, vcc, v11, v10, vcc
	v_add_co_u32_e32 v9, vcc, 8, v9
	v_addc_co_u32_e32 v10, vcc, 0, v10, vcc
	v_mov_b32_e32 v11, s41
	v_add_co_u32_e32 v12, vcc, s40, v21
	v_addc_co_u32_e32 v11, vcc, 0, v11, vcc
	v_add_co_u32_e32 v13, vcc, 16, v12
	v_addc_co_u32_e32 v11, vcc, 0, v11, vcc
	v_mul_lo_u32 v18, s16, v11
	v_mov_b32_e32 v11, s30
	v_mov_b32_e32 v12, s31
	v_mul_lo_u32 v19, s17, v13
	v_mad_u64_u32 v[13:14], s[2:3], s16, v13, v[11:12]
	v_mov_b32_e32 v17, s19
	v_add_co_u32_e32 v11, vcc, s18, v15
	v_addc_co_u32_e32 v12, vcc, v17, v16, vcc
	v_add3_u32 v14, v19, v14, v18
	v_add_co_u32_e32 v13, vcc, 8, v13
	v_addc_co_u32_e32 v14, vcc, 0, v14, vcc
.LBB3_9:                                ; =>This Inner Loop Header: Depth=1
	global_load_dwordx2 v[15:16], v[11:12], off offset:-8
	v_mov_b32_e32 v17, s26
	v_mov_b32_e32 v18, s27
	s_add_u32 s38, s38, -1
	s_addc_u32 s39, s39, -1
	s_cmp_eq_u64 s[38:39], 0
	s_waitcnt vmcnt(0)
	v_fma_f64 v[15:16], s[24:25], v[15:16], v[17:18]
	v_div_scale_f64 v[17:18], s[2:3], v[15:16], v[15:16], -s[22:23]
	v_rcp_f64_e32 v[19:20], v[17:18]
	v_fma_f64 v[21:22], -v[17:18], v[19:20], 1.0
	v_fma_f64 v[19:20], v[19:20], v[21:22], v[19:20]
	v_div_scale_f64 v[21:22], vcc, -s[22:23], v[15:16], -s[22:23]
	v_fma_f64 v[23:24], -v[17:18], v[19:20], 1.0
	v_fma_f64 v[19:20], v[19:20], v[23:24], v[19:20]
	v_mul_f64 v[23:24], v[21:22], v[19:20]
	v_fma_f64 v[17:18], -v[17:18], v[23:24], v[21:22]
	v_div_fmas_f64 v[17:18], v[17:18], v[19:20], v[23:24]
	v_div_fixup_f64 v[17:18], v[17:18], v[15:16], -s[22:23]
	global_store_dwordx2 v[11:12], v[17:18], off
	global_load_dwordx2 v[17:18], v[9:10], off
	s_nop 0
	global_load_dwordx2 v[19:20], v[5:6], off
	global_load_dwordx2 v[21:22], v[13:14], off
	global_load_dwordx2 v[23:24], v[7:8], off offset:-8
	s_waitcnt vmcnt(3)
	v_mul_f64 v[17:18], s[28:29], v[17:18]
	s_waitcnt vmcnt(2)
	v_fma_f64 v[17:18], v[3:4], v[19:20], -v[17:18]
	s_waitcnt vmcnt(1)
	v_fma_f64 v[17:18], -s[36:37], v[21:22], v[17:18]
	s_waitcnt vmcnt(0)
	v_fma_f64 v[17:18], -s[24:25], v[23:24], v[17:18]
	v_div_scale_f64 v[19:20], s[2:3], v[15:16], v[15:16], v[17:18]
	v_rcp_f64_e32 v[21:22], v[19:20]
	v_fma_f64 v[23:24], -v[19:20], v[21:22], 1.0
	v_fma_f64 v[21:22], v[21:22], v[23:24], v[21:22]
	v_div_scale_f64 v[23:24], vcc, v[17:18], v[15:16], v[17:18]
	v_fma_f64 v[25:26], -v[19:20], v[21:22], 1.0
	v_fma_f64 v[21:22], v[21:22], v[25:26], v[21:22]
	v_mul_f64 v[25:26], v[23:24], v[21:22]
	v_fma_f64 v[19:20], -v[19:20], v[25:26], v[23:24]
	v_div_fmas_f64 v[19:20], v[19:20], v[21:22], v[25:26]
	v_add_co_u32_e32 v11, vcc, 8, v11
	v_addc_co_u32_e32 v12, vcc, 0, v12, vcc
	v_add_co_u32_e32 v5, vcc, 8, v5
	v_addc_co_u32_e32 v6, vcc, 0, v6, vcc
	;; [unrolled: 2-line block ×4, first 2 shown]
	v_div_fixup_f64 v[15:16], v[19:20], v[15:16], v[17:18]
	global_store_dwordx2 v[7:8], v[15:16], off
	v_add_co_u32_e32 v7, vcc, 8, v7
	v_addc_co_u32_e32 v8, vcc, 0, v8, vcc
	s_cbranch_scc0 .LBB3_9
.LBB3_10:
	s_or_b64 exec, exec, s[0:1]
.LBB3_11:
	v_lshlrev_b64 v[1:2], 3, v[1:2]
	v_mov_b32_e32 v4, s15
	v_add_co_u32_e32 v3, vcc, s14, v1
	v_addc_co_u32_e32 v4, vcc, v4, v2, vcc
	v_mov_b32_e32 v1, 0
	v_mov_b32_e32 v2, 0x3ff00000
	s_andn2_b64 vcc, exec, s[12:13]
	global_store_dwordx2 v[3:4], v[1:2], off offset:-8
	s_cbranch_vccnz .LBB3_18
; %bb.12:
	v_mov_b32_e32 v2, s35
	v_add_co_u32_e32 v3, vcc, s34, v0
	v_addc_co_u32_e32 v2, vcc, 0, v2, vcc
	v_add_co_u32_e32 v3, vcc, 2, v3
	v_addc_co_u32_e32 v2, vcc, 0, v2, vcc
	v_mul_lo_u32 v4, s17, v3
	v_mul_lo_u32 v5, s16, v2
	v_mad_u64_u32 v[2:3], s[0:1], s16, v3, 0
	s_add_u32 s2, s16, -3
	s_addc_u32 s3, s17, -1
	v_add3_u32 v3, v3, v5, v4
	v_lshlrev_b64 v[2:3], 3, v[2:3]
	v_mov_b32_e32 v5, s15
	v_add_co_u32_e32 v4, vcc, s14, v2
	v_addc_co_u32_e32 v5, vcc, v5, v3, vcc
	v_mad_u64_u32 v[6:7], s[0:1], s2, -8, v[4:5]
	v_add_co_u32_e32 v2, vcc, -16, v4
	s_lshl_b32 s0, s3, 3
	v_addc_co_u32_e32 v3, vcc, -1, v5, vcc
	v_subrev_u32_e32 v7, s0, v7
	v_subrev_u32_e32 v9, s2, v7
	v_add_co_u32_e32 v7, vcc, -16, v6
	v_addc_co_u32_e32 v8, vcc, -1, v9, vcc
	v_cmp_le_u64_e32 vcc, v[7:8], v[2:3]
	v_add_co_u32_e64 v3, s[0:1], -8, v4
	v_addc_co_u32_e64 v4, s[0:1], -1, v5, s[0:1]
	v_add_co_u32_e64 v5, s[0:1], -8, v6
	v_addc_co_u32_e64 v6, s[0:1], -1, v9, s[0:1]
	v_bfrev_b32_e32 v2, 4
	v_cmp_le_u64_e64 s[0:1], v[5:6], v[3:4]
	v_cmp_lt_u64_e64 s[2:3], s[2:3], v[1:2]
	s_and_b64 s[0:1], s[0:1], vcc
	s_and_b64 s[0:1], s[0:1], s[2:3]
	s_and_saveexec_b64 s[2:3], s[0:1]
	s_xor_b64 s[2:3], exec, s[2:3]
	s_cbranch_execz .LBB3_15
; %bb.13:
	global_load_dwordx2 v[2:3], v[3:4], off
	s_lshl_b64 s[0:1], s[6:7], 11
	v_lshl_or_b32 v0, v0, 3, s0
	v_mov_b32_e32 v1, s1
	v_add_co_u32_e32 v0, vcc, 16, v0
	v_addc_co_u32_e32 v1, vcc, 0, v1, vcc
	v_mul_lo_u32 v4, s16, v1
	v_mul_lo_u32 v5, s17, v0
	v_mad_u64_u32 v[0:1], s[0:1], s16, v0, -16
	v_mov_b32_e32 v7, s19
	v_mov_b32_e32 v9, s15
	v_add3_u32 v1, v5, v1, v4
	v_mov_b32_e32 v5, s21
	v_add_co_u32_e32 v4, vcc, s20, v0
	v_addc_co_u32_e32 v5, vcc, v5, v1, vcc
	v_add_co_u32_e32 v6, vcc, s18, v0
	v_addc_co_u32_e32 v7, vcc, v7, v1, vcc
	v_add_co_u32_e32 v8, vcc, s14, v0
	s_add_u32 s4, s16, -1
	v_addc_co_u32_e32 v9, vcc, v9, v1, vcc
	s_addc_u32 s5, s17, -1
                                        ; implicit-def: $vgpr0_vgpr1
.LBB3_14:                               ; =>This Inner Loop Header: Depth=1
	global_load_dwordx2 v[10:11], v[6:7], off
	global_load_dwordx2 v[12:13], v[4:5], off
	v_add_co_u32_e32 v4, vcc, -8, v4
	s_add_u32 s4, s4, -1
	v_addc_co_u32_e32 v5, vcc, -1, v5, vcc
	s_addc_u32 s5, s5, -1
	v_add_co_u32_e32 v6, vcc, -8, v6
	v_cmp_gt_u64_e64 s[0:1], s[4:5], 1
	v_addc_co_u32_e32 v7, vcc, -1, v7, vcc
	s_and_b64 vcc, exec, s[0:1]
	s_waitcnt vmcnt(0)
	v_fma_f64 v[2:3], v[10:11], v[2:3], v[12:13]
	global_store_dwordx2 v[8:9], v[2:3], off
	v_add_co_u32_e64 v8, s[0:1], -8, v8
	v_addc_co_u32_e64 v9, s[0:1], -1, v9, s[0:1]
	s_cbranch_vccnz .LBB3_14
.LBB3_15:
	s_andn2_saveexec_b64 s[0:1], s[2:3]
	s_cbranch_execz .LBB3_18
; %bb.16:
	s_lshl_b64 s[0:1], s[6:7], 11
	v_lshl_or_b32 v0, v0, 3, s0
	v_mov_b32_e32 v1, s1
	v_add_co_u32_e32 v2, vcc, 16, v0
	v_addc_co_u32_e32 v0, vcc, 0, v1, vcc
	v_mul_lo_u32 v3, s16, v0
	v_mov_b32_e32 v0, s14
	v_mov_b32_e32 v1, s15
	v_mul_lo_u32 v8, s17, v2
	v_mad_u64_u32 v[6:7], s[0:1], s16, v2, v[0:1]
	v_mad_u64_u32 v[4:5], s[0:1], s16, v2, -16
	v_add3_u32 v7, v8, v7, v3
	global_load_dwordx2 v[0:1], v[6:7], off offset:-8
	v_add3_u32 v5, v8, v5, v3
	v_mov_b32_e32 v3, s21
	v_add_co_u32_e32 v2, vcc, s20, v4
	v_addc_co_u32_e32 v3, vcc, v3, v5, vcc
	v_mov_b32_e32 v8, s19
	v_add_co_u32_e32 v4, vcc, s18, v4
	v_addc_co_u32_e32 v5, vcc, v8, v5, vcc
	v_add_co_u32_e32 v6, vcc, -8, v6
	s_add_u32 s0, s16, -1
	v_addc_co_u32_e32 v7, vcc, -1, v7, vcc
	s_addc_u32 s1, s17, -1
.LBB3_17:                               ; =>This Inner Loop Header: Depth=1
	global_load_dwordx2 v[8:9], v[4:5], off
	global_load_dwordx2 v[10:11], v[2:3], off
	v_add_co_u32_e32 v12, vcc, -8, v6
	v_addc_co_u32_e32 v13, vcc, -1, v7, vcc
	v_add_co_u32_e32 v2, vcc, -8, v2
	s_add_u32 s0, s0, -1
	v_addc_co_u32_e32 v3, vcc, -1, v3, vcc
	s_addc_u32 s1, s1, -1
	v_add_co_u32_e32 v4, vcc, -8, v4
	v_cmp_lt_u64_e64 s[2:3], s[0:1], 2
	v_addc_co_u32_e32 v5, vcc, -1, v5, vcc
	s_and_b64 vcc, exec, s[2:3]
	s_waitcnt vmcnt(0)
	v_fma_f64 v[0:1], v[8:9], v[0:1], v[10:11]
	global_store_dwordx2 v[6:7], v[0:1], off offset:-8
	v_mov_b32_e32 v6, v12
	v_mov_b32_e32 v7, v13
	s_cbranch_vccz .LBB3_17
.LBB3_18:
	s_endpgm
	.section	.rodata,"a",@progbits
	.p2align	6, 0x0
	.amdhsa_kernel _ZN8rajaperf9polybench12poly_adi_lamILm256EZNS0_13POLYBENCH_ADI17runHipVariantImplILm256EEEvNS_9VariantIDEEUllE0_EEvlT0_
		.amdhsa_group_segment_fixed_size 0
		.amdhsa_private_segment_fixed_size 0
		.amdhsa_kernarg_size 88
		.amdhsa_user_sgpr_count 6
		.amdhsa_user_sgpr_private_segment_buffer 1
		.amdhsa_user_sgpr_dispatch_ptr 0
		.amdhsa_user_sgpr_queue_ptr 0
		.amdhsa_user_sgpr_kernarg_segment_ptr 1
		.amdhsa_user_sgpr_dispatch_id 0
		.amdhsa_user_sgpr_flat_scratch_init 0
		.amdhsa_user_sgpr_private_segment_size 0
		.amdhsa_uses_dynamic_stack 0
		.amdhsa_system_sgpr_private_segment_wavefront_offset 0
		.amdhsa_system_sgpr_workgroup_id_x 1
		.amdhsa_system_sgpr_workgroup_id_y 0
		.amdhsa_system_sgpr_workgroup_id_z 0
		.amdhsa_system_sgpr_workgroup_info 0
		.amdhsa_system_vgpr_workitem_id 0
		.amdhsa_next_free_vgpr 29
		.amdhsa_next_free_sgpr 46
		.amdhsa_reserve_vcc 1
		.amdhsa_reserve_flat_scratch 0
		.amdhsa_float_round_mode_32 0
		.amdhsa_float_round_mode_16_64 0
		.amdhsa_float_denorm_mode_32 3
		.amdhsa_float_denorm_mode_16_64 3
		.amdhsa_dx10_clamp 1
		.amdhsa_ieee_mode 1
		.amdhsa_fp16_overflow 0
		.amdhsa_exception_fp_ieee_invalid_op 0
		.amdhsa_exception_fp_denorm_src 0
		.amdhsa_exception_fp_ieee_div_zero 0
		.amdhsa_exception_fp_ieee_overflow 0
		.amdhsa_exception_fp_ieee_underflow 0
		.amdhsa_exception_fp_ieee_inexact 0
		.amdhsa_exception_int_div_zero 0
	.end_amdhsa_kernel
	.section	.text._ZN8rajaperf9polybench12poly_adi_lamILm256EZNS0_13POLYBENCH_ADI17runHipVariantImplILm256EEEvNS_9VariantIDEEUllE0_EEvlT0_,"axG",@progbits,_ZN8rajaperf9polybench12poly_adi_lamILm256EZNS0_13POLYBENCH_ADI17runHipVariantImplILm256EEEvNS_9VariantIDEEUllE0_EEvlT0_,comdat
.Lfunc_end3:
	.size	_ZN8rajaperf9polybench12poly_adi_lamILm256EZNS0_13POLYBENCH_ADI17runHipVariantImplILm256EEEvNS_9VariantIDEEUllE0_EEvlT0_, .Lfunc_end3-_ZN8rajaperf9polybench12poly_adi_lamILm256EZNS0_13POLYBENCH_ADI17runHipVariantImplILm256EEEvNS_9VariantIDEEUllE0_EEvlT0_
                                        ; -- End function
	.set _ZN8rajaperf9polybench12poly_adi_lamILm256EZNS0_13POLYBENCH_ADI17runHipVariantImplILm256EEEvNS_9VariantIDEEUllE0_EEvlT0_.num_vgpr, 29
	.set _ZN8rajaperf9polybench12poly_adi_lamILm256EZNS0_13POLYBENCH_ADI17runHipVariantImplILm256EEEvNS_9VariantIDEEUllE0_EEvlT0_.num_agpr, 0
	.set _ZN8rajaperf9polybench12poly_adi_lamILm256EZNS0_13POLYBENCH_ADI17runHipVariantImplILm256EEEvNS_9VariantIDEEUllE0_EEvlT0_.numbered_sgpr, 46
	.set _ZN8rajaperf9polybench12poly_adi_lamILm256EZNS0_13POLYBENCH_ADI17runHipVariantImplILm256EEEvNS_9VariantIDEEUllE0_EEvlT0_.num_named_barrier, 0
	.set _ZN8rajaperf9polybench12poly_adi_lamILm256EZNS0_13POLYBENCH_ADI17runHipVariantImplILm256EEEvNS_9VariantIDEEUllE0_EEvlT0_.private_seg_size, 0
	.set _ZN8rajaperf9polybench12poly_adi_lamILm256EZNS0_13POLYBENCH_ADI17runHipVariantImplILm256EEEvNS_9VariantIDEEUllE0_EEvlT0_.uses_vcc, 1
	.set _ZN8rajaperf9polybench12poly_adi_lamILm256EZNS0_13POLYBENCH_ADI17runHipVariantImplILm256EEEvNS_9VariantIDEEUllE0_EEvlT0_.uses_flat_scratch, 0
	.set _ZN8rajaperf9polybench12poly_adi_lamILm256EZNS0_13POLYBENCH_ADI17runHipVariantImplILm256EEEvNS_9VariantIDEEUllE0_EEvlT0_.has_dyn_sized_stack, 0
	.set _ZN8rajaperf9polybench12poly_adi_lamILm256EZNS0_13POLYBENCH_ADI17runHipVariantImplILm256EEEvNS_9VariantIDEEUllE0_EEvlT0_.has_recursion, 0
	.set _ZN8rajaperf9polybench12poly_adi_lamILm256EZNS0_13POLYBENCH_ADI17runHipVariantImplILm256EEEvNS_9VariantIDEEUllE0_EEvlT0_.has_indirect_call, 0
	.section	.AMDGPU.csdata,"",@progbits
; Kernel info:
; codeLenInByte = 2472
; TotalNumSgprs: 50
; NumVgprs: 29
; ScratchSize: 0
; MemoryBound: 0
; FloatMode: 240
; IeeeMode: 1
; LDSByteSize: 0 bytes/workgroup (compile time only)
; SGPRBlocks: 6
; VGPRBlocks: 7
; NumSGPRsForWavesPerEU: 50
; NumVGPRsForWavesPerEU: 29
; Occupancy: 8
; WaveLimiterHint : 0
; COMPUTE_PGM_RSRC2:SCRATCH_EN: 0
; COMPUTE_PGM_RSRC2:USER_SGPR: 6
; COMPUTE_PGM_RSRC2:TRAP_HANDLER: 0
; COMPUTE_PGM_RSRC2:TGID_X_EN: 1
; COMPUTE_PGM_RSRC2:TGID_Y_EN: 0
; COMPUTE_PGM_RSRC2:TGID_Z_EN: 0
; COMPUTE_PGM_RSRC2:TIDIG_COMP_CNT: 0
	.section	.text._ZN4RAJA8internal22HipKernelLauncherFixedILi256ENS0_8LoopDataIN4camp5tupleIJNS_4SpanINS_9Iterators16numeric_iteratorIllPlEElEESA_NS5_INS6_24strided_numeric_iteratorIllS8_EElEEEEENS4_IJEEENS3_9resources2v13HipEJZN8rajaperf9polybench13POLYBENCH_ADI17runHipVariantImplILm256EEEvNSJ_9VariantIDEEUllE1_ZNSM_ILm256EEEvSN_EUlllE_ZNSM_ILm256EEEvSN_EUllE2_ZNSM_ILm256EEEvSN_EUlllE0_EEENS0_24HipStatementListExecutorISS_NS3_4listIJNS_9statement3ForILl0ENS_6policy3hip11hip_indexerINS_17iteration_mapping6DirectELNS_23kernel_sync_requirementE0EJNS_3hip11IndexGlobalILNS_9named_dimE0ELi256ELi0EEEEEEJNSV_6LambdaILl0EJNSU_IJNS0_9LambdaArgINS0_16lambda_arg_seg_tELl0EEEEEEEEENSW_ILl1ENSX_10sequential8seq_execEJNS18_ILl1EJNSU_IJS1B_NS19_IS1A_Ll1EEEEEEEEEEEENS18_ILl2EJS1C_EEENSW_ILl2ES1F_JNS18_ILl3EJNSU_IJS1B_NS19_IS1A_Ll2EEEEEEEEEEEEEEEEEENS0_9LoopTypesINSU_IJvvvEEES1S_EEEEEEvT0_,"axG",@progbits,_ZN4RAJA8internal22HipKernelLauncherFixedILi256ENS0_8LoopDataIN4camp5tupleIJNS_4SpanINS_9Iterators16numeric_iteratorIllPlEElEESA_NS5_INS6_24strided_numeric_iteratorIllS8_EElEEEEENS4_IJEEENS3_9resources2v13HipEJZN8rajaperf9polybench13POLYBENCH_ADI17runHipVariantImplILm256EEEvNSJ_9VariantIDEEUllE1_ZNSM_ILm256EEEvSN_EUlllE_ZNSM_ILm256EEEvSN_EUllE2_ZNSM_ILm256EEEvSN_EUlllE0_EEENS0_24HipStatementListExecutorISS_NS3_4listIJNS_9statement3ForILl0ENS_6policy3hip11hip_indexerINS_17iteration_mapping6DirectELNS_23kernel_sync_requirementE0EJNS_3hip11IndexGlobalILNS_9named_dimE0ELi256ELi0EEEEEEJNSV_6LambdaILl0EJNSU_IJNS0_9LambdaArgINS0_16lambda_arg_seg_tELl0EEEEEEEEENSW_ILl1ENSX_10sequential8seq_execEJNS18_ILl1EJNSU_IJS1B_NS19_IS1A_Ll1EEEEEEEEEEEENS18_ILl2EJS1C_EEENSW_ILl2ES1F_JNS18_ILl3EJNSU_IJS1B_NS19_IS1A_Ll2EEEEEEEEEEEEEEEEEENS0_9LoopTypesINSU_IJvvvEEES1S_EEEEEEvT0_,comdat
	.protected	_ZN4RAJA8internal22HipKernelLauncherFixedILi256ENS0_8LoopDataIN4camp5tupleIJNS_4SpanINS_9Iterators16numeric_iteratorIllPlEElEESA_NS5_INS6_24strided_numeric_iteratorIllS8_EElEEEEENS4_IJEEENS3_9resources2v13HipEJZN8rajaperf9polybench13POLYBENCH_ADI17runHipVariantImplILm256EEEvNSJ_9VariantIDEEUllE1_ZNSM_ILm256EEEvSN_EUlllE_ZNSM_ILm256EEEvSN_EUllE2_ZNSM_ILm256EEEvSN_EUlllE0_EEENS0_24HipStatementListExecutorISS_NS3_4listIJNS_9statement3ForILl0ENS_6policy3hip11hip_indexerINS_17iteration_mapping6DirectELNS_23kernel_sync_requirementE0EJNS_3hip11IndexGlobalILNS_9named_dimE0ELi256ELi0EEEEEEJNSV_6LambdaILl0EJNSU_IJNS0_9LambdaArgINS0_16lambda_arg_seg_tELl0EEEEEEEEENSW_ILl1ENSX_10sequential8seq_execEJNS18_ILl1EJNSU_IJS1B_NS19_IS1A_Ll1EEEEEEEEEEEENS18_ILl2EJS1C_EEENSW_ILl2ES1F_JNS18_ILl3EJNSU_IJS1B_NS19_IS1A_Ll2EEEEEEEEEEEEEEEEEENS0_9LoopTypesINSU_IJvvvEEES1S_EEEEEEvT0_ ; -- Begin function _ZN4RAJA8internal22HipKernelLauncherFixedILi256ENS0_8LoopDataIN4camp5tupleIJNS_4SpanINS_9Iterators16numeric_iteratorIllPlEElEESA_NS5_INS6_24strided_numeric_iteratorIllS8_EElEEEEENS4_IJEEENS3_9resources2v13HipEJZN8rajaperf9polybench13POLYBENCH_ADI17runHipVariantImplILm256EEEvNSJ_9VariantIDEEUllE1_ZNSM_ILm256EEEvSN_EUlllE_ZNSM_ILm256EEEvSN_EUllE2_ZNSM_ILm256EEEvSN_EUlllE0_EEENS0_24HipStatementListExecutorISS_NS3_4listIJNS_9statement3ForILl0ENS_6policy3hip11hip_indexerINS_17iteration_mapping6DirectELNS_23kernel_sync_requirementE0EJNS_3hip11IndexGlobalILNS_9named_dimE0ELi256ELi0EEEEEEJNSV_6LambdaILl0EJNSU_IJNS0_9LambdaArgINS0_16lambda_arg_seg_tELl0EEEEEEEEENSW_ILl1ENSX_10sequential8seq_execEJNS18_ILl1EJNSU_IJS1B_NS19_IS1A_Ll1EEEEEEEEEEEENS18_ILl2EJS1C_EEENSW_ILl2ES1F_JNS18_ILl3EJNSU_IJS1B_NS19_IS1A_Ll2EEEEEEEEEEEEEEEEEENS0_9LoopTypesINSU_IJvvvEEES1S_EEEEEEvT0_
	.globl	_ZN4RAJA8internal22HipKernelLauncherFixedILi256ENS0_8LoopDataIN4camp5tupleIJNS_4SpanINS_9Iterators16numeric_iteratorIllPlEElEESA_NS5_INS6_24strided_numeric_iteratorIllS8_EElEEEEENS4_IJEEENS3_9resources2v13HipEJZN8rajaperf9polybench13POLYBENCH_ADI17runHipVariantImplILm256EEEvNSJ_9VariantIDEEUllE1_ZNSM_ILm256EEEvSN_EUlllE_ZNSM_ILm256EEEvSN_EUllE2_ZNSM_ILm256EEEvSN_EUlllE0_EEENS0_24HipStatementListExecutorISS_NS3_4listIJNS_9statement3ForILl0ENS_6policy3hip11hip_indexerINS_17iteration_mapping6DirectELNS_23kernel_sync_requirementE0EJNS_3hip11IndexGlobalILNS_9named_dimE0ELi256ELi0EEEEEEJNSV_6LambdaILl0EJNSU_IJNS0_9LambdaArgINS0_16lambda_arg_seg_tELl0EEEEEEEEENSW_ILl1ENSX_10sequential8seq_execEJNS18_ILl1EJNSU_IJS1B_NS19_IS1A_Ll1EEEEEEEEEEEENS18_ILl2EJS1C_EEENSW_ILl2ES1F_JNS18_ILl3EJNSU_IJS1B_NS19_IS1A_Ll2EEEEEEEEEEEEEEEEEENS0_9LoopTypesINSU_IJvvvEEES1S_EEEEEEvT0_
	.p2align	8
	.type	_ZN4RAJA8internal22HipKernelLauncherFixedILi256ENS0_8LoopDataIN4camp5tupleIJNS_4SpanINS_9Iterators16numeric_iteratorIllPlEElEESA_NS5_INS6_24strided_numeric_iteratorIllS8_EElEEEEENS4_IJEEENS3_9resources2v13HipEJZN8rajaperf9polybench13POLYBENCH_ADI17runHipVariantImplILm256EEEvNSJ_9VariantIDEEUllE1_ZNSM_ILm256EEEvSN_EUlllE_ZNSM_ILm256EEEvSN_EUllE2_ZNSM_ILm256EEEvSN_EUlllE0_EEENS0_24HipStatementListExecutorISS_NS3_4listIJNS_9statement3ForILl0ENS_6policy3hip11hip_indexerINS_17iteration_mapping6DirectELNS_23kernel_sync_requirementE0EJNS_3hip11IndexGlobalILNS_9named_dimE0ELi256ELi0EEEEEEJNSV_6LambdaILl0EJNSU_IJNS0_9LambdaArgINS0_16lambda_arg_seg_tELl0EEEEEEEEENSW_ILl1ENSX_10sequential8seq_execEJNS18_ILl1EJNSU_IJS1B_NS19_IS1A_Ll1EEEEEEEEEEEENS18_ILl2EJS1C_EEENSW_ILl2ES1F_JNS18_ILl3EJNSU_IJS1B_NS19_IS1A_Ll2EEEEEEEEEEEEEEEEEENS0_9LoopTypesINSU_IJvvvEEES1S_EEEEEEvT0_,@function
_ZN4RAJA8internal22HipKernelLauncherFixedILi256ENS0_8LoopDataIN4camp5tupleIJNS_4SpanINS_9Iterators16numeric_iteratorIllPlEElEESA_NS5_INS6_24strided_numeric_iteratorIllS8_EElEEEEENS4_IJEEENS3_9resources2v13HipEJZN8rajaperf9polybench13POLYBENCH_ADI17runHipVariantImplILm256EEEvNSJ_9VariantIDEEUllE1_ZNSM_ILm256EEEvSN_EUlllE_ZNSM_ILm256EEEvSN_EUllE2_ZNSM_ILm256EEEvSN_EUlllE0_EEENS0_24HipStatementListExecutorISS_NS3_4listIJNS_9statement3ForILl0ENS_6policy3hip11hip_indexerINS_17iteration_mapping6DirectELNS_23kernel_sync_requirementE0EJNS_3hip11IndexGlobalILNS_9named_dimE0ELi256ELi0EEEEEEJNSV_6LambdaILl0EJNSU_IJNS0_9LambdaArgINS0_16lambda_arg_seg_tELl0EEEEEEEEENSW_ILl1ENSX_10sequential8seq_execEJNS18_ILl1EJNSU_IJS1B_NS19_IS1A_Ll1EEEEEEEEEEEENS18_ILl2EJS1C_EEENSW_ILl2ES1F_JNS18_ILl3EJNSU_IJS1B_NS19_IS1A_Ll2EEEEEEEEEEEEEEEEEENS0_9LoopTypesINSU_IJvvvEEES1S_EEEEEEvT0_: ; @_ZN4RAJA8internal22HipKernelLauncherFixedILi256ENS0_8LoopDataIN4camp5tupleIJNS_4SpanINS_9Iterators16numeric_iteratorIllPlEElEESA_NS5_INS6_24strided_numeric_iteratorIllS8_EElEEEEENS4_IJEEENS3_9resources2v13HipEJZN8rajaperf9polybench13POLYBENCH_ADI17runHipVariantImplILm256EEEvNSJ_9VariantIDEEUllE1_ZNSM_ILm256EEEvSN_EUlllE_ZNSM_ILm256EEEvSN_EUllE2_ZNSM_ILm256EEEvSN_EUlllE0_EEENS0_24HipStatementListExecutorISS_NS3_4listIJNS_9statement3ForILl0ENS_6policy3hip11hip_indexerINS_17iteration_mapping6DirectELNS_23kernel_sync_requirementE0EJNS_3hip11IndexGlobalILNS_9named_dimE0ELi256ELi0EEEEEEJNSV_6LambdaILl0EJNSU_IJNS0_9LambdaArgINS0_16lambda_arg_seg_tELl0EEEEEEEEENSW_ILl1ENSX_10sequential8seq_execEJNS18_ILl1EJNSU_IJS1B_NS19_IS1A_Ll1EEEEEEEEEEEENS18_ILl2EJS1C_EEENSW_ILl2ES1F_JNS18_ILl3EJNSU_IJS1B_NS19_IS1A_Ll2EEEEEEEEEEEEEEEEEENS0_9LoopTypesINSU_IJvvvEEES1S_EEEEEEvT0_
; %bb.0:
	s_load_dwordx16 s[8:23], s[4:5], 0x0
	s_mov_b32 s7, 0
	s_waitcnt lgkmcnt(0)
	s_sub_u32 s0, s10, s8
	s_subb_u32 s1, s11, s9
	s_lshl_b64 s[2:3], s[6:7], 8
	v_or_b32_e32 v0, s2, v0
	v_mov_b32_e32 v1, s3
	v_cmp_gt_i64_e64 s[0:1], s[0:1], v[0:1]
	s_and_saveexec_b64 s[2:3], s[0:1]
	s_cbranch_execz .LBB4_2
; %bb.1:
	s_load_dwordx2 s[6:7], s[4:5], 0xb8
	s_load_dwordx2 s[10:11], s[4:5], 0xa0
	;; [unrolled: 1-line block ×3, first 2 shown]
	v_mov_b32_e32 v3, s9
	v_add_co_u32_e32 v2, vcc, s8, v0
	v_addc_co_u32_e32 v3, vcc, v3, v1, vcc
	v_lshlrev_b64 v[4:5], 3, v[2:3]
	s_waitcnt lgkmcnt(0)
	v_mov_b32_e32 v6, s25
	v_add_co_u32_e32 v4, vcc, s24, v4
	v_addc_co_u32_e32 v5, vcc, v6, v5, vcc
	v_mul_lo_u32 v10, s7, v2
	v_mul_lo_u32 v11, s6, v3
	v_mad_u64_u32 v[6:7], s[6:7], s6, v2, 0
	v_mov_b32_e32 v8, 0
	v_mov_b32_e32 v9, 0x3ff00000
	v_add3_u32 v7, v7, v11, v10
	v_lshlrev_b64 v[6:7], 3, v[6:7]
	global_store_dwordx2 v[4:5], v[8:9], off
	v_mov_b32_e32 v9, s11
	v_add_co_u32_e32 v6, vcc, s10, v6
	v_addc_co_u32_e32 v7, vcc, v9, v7, vcc
	v_mov_b32_e32 v9, v8
	global_store_dwordx2 v[6:7], v[8:9], off
	global_load_dwordx2 v[4:5], v[4:5], off
	s_load_dwordx2 s[6:7], s[4:5], 0x100
	s_waitcnt lgkmcnt(0)
	v_mul_lo_u32 v6, s7, v2
	v_mul_lo_u32 v7, s6, v3
	v_mad_u64_u32 v[2:3], s[6:7], s6, v2, 0
	s_load_dwordx2 s[6:7], s[4:5], 0xe8
	v_add3_u32 v3, v3, v7, v6
	v_lshlrev_b64 v[2:3], 3, v[2:3]
	s_waitcnt lgkmcnt(0)
	v_mov_b32_e32 v6, s7
	v_add_co_u32_e32 v2, vcc, s6, v2
	v_addc_co_u32_e32 v3, vcc, v6, v3, vcc
	s_waitcnt vmcnt(0)
	global_store_dwordx2 v[2:3], v[4:5], off
.LBB4_2:
	s_or_b64 exec, exec, s[2:3]
	s_load_dwordx4 s[36:39], s[4:5], 0x228
	s_sub_u32 s6, s14, s12
	s_subb_u32 s7, s15, s13
	v_cmp_lt_i64_e64 s[2:3], s[6:7], 1
	s_and_b64 vcc, exec, s[2:3]
	s_cbranch_vccnz .LBB4_7
; %bb.3:
	s_load_dwordx2 s[2:3], s[4:5], 0x130
	s_load_dwordx2 s[10:11], s[4:5], 0x148
	;; [unrolled: 1-line block ×3, first 2 shown]
	s_load_dwordx4 s[40:43], s[4:5], 0x1d8
	v_mov_b32_e32 v2, s9
	v_add_co_u32_e32 v6, vcc, s8, v0
	v_addc_co_u32_e32 v7, vcc, v2, v1, vcc
	s_waitcnt lgkmcnt(0)
	v_mul_lo_u32 v8, s15, v6
	v_mul_lo_u32 v9, s14, v7
	v_mad_u64_u32 v[4:5], s[14:15], s14, v6, 0
	s_load_dwordx2 s[14:15], s[4:5], 0x1f8
	s_load_dwordx8 s[24:31], s[4:5], 0x178
	s_lshl_b64 s[34:35], s[12:13], 3
	v_add3_u32 v5, v5, v9, v8
	v_lshlrev_b64 v[4:5], 3, v[4:5]
	s_waitcnt lgkmcnt(0)
	s_mul_i32 s13, s13, s14
	s_add_u32 s30, s30, s34
	s_addc_u32 s31, s31, s35
	v_mov_b32_e32 v8, s31
	v_add_co_u32_e32 v4, vcc, s30, v4
	s_mul_i32 s30, s12, s15
	s_mul_hi_u32 s31, s12, s14
	s_add_i32 s30, s31, s30
	s_add_i32 s13, s30, s13
	s_mul_i32 s12, s12, s14
	v_addc_co_u32_e32 v5, vcc, v8, v5, vcc
	s_lshl_b64 s[12:13], s[12:13], 3
	v_add_co_u32_e32 v4, vcc, -8, v4
	v_lshlrev_b64 v[8:9], 3, v[6:7]
	s_add_u32 s12, s42, s12
	v_addc_co_u32_e32 v5, vcc, -1, v5, vcc
	s_addc_u32 s13, s43, s13
	v_mov_b32_e32 v10, s13
	v_add_co_u32_e32 v11, vcc, s12, v8
	v_addc_co_u32_e32 v10, vcc, v10, v9, vcc
	v_mul_lo_u32 v12, s11, v6
	v_mul_lo_u32 v13, s10, v7
	v_mad_u64_u32 v[8:9], s[10:11], s10, v6, 0
	v_fma_f64 v[2:3], s[40:41], 2.0, 1.0
	s_lshl_b64 s[10:11], s[14:15], 3
	v_add3_u32 v9, v9, v13, v12
	v_add_co_u32_e32 v6, vcc, 8, v11
	v_lshlrev_b64 v[8:9], 3, v[8:9]
	s_add_u32 s2, s2, s34
	v_addc_co_u32_e32 v7, vcc, 0, v10, vcc
	s_addc_u32 s3, s3, s35
	v_mov_b32_e32 v10, s3
	v_add_co_u32_e32 v8, vcc, s2, v8
	v_addc_co_u32_e32 v9, vcc, v10, v9, vcc
	v_add_co_u32_e32 v8, vcc, -8, v8
	v_addc_co_u32_e32 v9, vcc, -1, v9, vcc
	s_mov_b64 s[12:13], 0
	s_branch .LBB4_5
.LBB4_4:                                ;   in Loop: Header=BB4_5 Depth=1
	s_or_b64 exec, exec, s[2:3]
	v_add_co_u32_e32 v4, vcc, 8, v4
	v_addc_co_u32_e32 v5, vcc, 0, v5, vcc
	v_mov_b32_e32 v10, s11
	v_add_co_u32_e32 v6, vcc, s10, v6
	s_add_u32 s12, s12, 1
	v_addc_co_u32_e32 v7, vcc, v7, v10, vcc
	v_mov_b32_e32 v11, s7
	s_addc_u32 s13, s13, 0
	v_mov_b32_e32 v10, s6
	v_cmp_lt_i64_e32 vcc, s[12:13], v[10:11]
	v_add_co_u32_e64 v8, s[2:3], 8, v8
	v_addc_co_u32_e64 v9, s[2:3], 0, v9, s[2:3]
	s_cbranch_vccz .LBB4_7
.LBB4_5:                                ; =>This Inner Loop Header: Depth=1
	s_and_saveexec_b64 s[2:3], s[0:1]
	s_cbranch_execz .LBB4_4
; %bb.6:                                ;   in Loop: Header=BB4_5 Depth=1
	global_load_dwordx2 v[10:11], v[8:9], off
	v_mov_b32_e32 v12, s28
	v_mov_b32_e32 v13, s29
	s_waitcnt vmcnt(0)
	v_fma_f64 v[14:15], s[26:27], v[10:11], v[12:13]
	v_div_scale_f64 v[10:11], s[14:15], v[14:15], v[14:15], -s[24:25]
	v_rcp_f64_e32 v[12:13], v[10:11]
	v_fma_f64 v[16:17], -v[10:11], v[12:13], 1.0
	v_fma_f64 v[12:13], v[12:13], v[16:17], v[12:13]
	v_div_scale_f64 v[16:17], vcc, -s[24:25], v[14:15], -s[24:25]
	v_fma_f64 v[18:19], -v[10:11], v[12:13], 1.0
	v_fma_f64 v[12:13], v[12:13], v[18:19], v[12:13]
	v_mul_f64 v[18:19], v[16:17], v[12:13]
	v_fma_f64 v[10:11], -v[10:11], v[18:19], v[16:17]
	v_div_fmas_f64 v[10:11], v[10:11], v[12:13], v[18:19]
	v_div_fixup_f64 v[10:11], v[10:11], v[14:15], -s[24:25]
	global_store_dwordx2 v[8:9], v[10:11], off offset:8
	global_load_dwordx4 v[10:13], v[6:7], off offset:-16
	s_nop 0
	global_load_dwordx2 v[16:17], v[6:7], off
	global_load_dwordx2 v[18:19], v[4:5], off
	s_waitcnt vmcnt(2)
	v_mul_f64 v[10:11], s[40:41], v[10:11]
	v_fma_f64 v[10:11], v[2:3], v[12:13], -v[10:11]
	s_waitcnt vmcnt(1)
	v_fma_f64 v[10:11], -s[36:37], v[16:17], v[10:11]
	s_waitcnt vmcnt(0)
	v_fma_f64 v[10:11], -s[26:27], v[18:19], v[10:11]
	v_div_scale_f64 v[12:13], s[14:15], v[14:15], v[14:15], v[10:11]
	v_div_scale_f64 v[20:21], vcc, v[10:11], v[14:15], v[10:11]
	v_rcp_f64_e32 v[16:17], v[12:13]
	v_fma_f64 v[18:19], -v[12:13], v[16:17], 1.0
	v_fma_f64 v[16:17], v[16:17], v[18:19], v[16:17]
	v_fma_f64 v[18:19], -v[12:13], v[16:17], 1.0
	v_fma_f64 v[16:17], v[16:17], v[18:19], v[16:17]
	v_mul_f64 v[18:19], v[20:21], v[16:17]
	v_fma_f64 v[12:13], -v[12:13], v[18:19], v[20:21]
	v_div_fmas_f64 v[12:13], v[12:13], v[16:17], v[18:19]
	v_div_fixup_f64 v[10:11], v[12:13], v[14:15], v[10:11]
	global_store_dwordx2 v[4:5], v[10:11], off offset:8
	s_branch .LBB4_4
.LBB4_7:
	s_load_dwordx4 s[12:15], s[4:5], 0x278
	s_and_saveexec_b64 s[2:3], s[0:1]
	s_cbranch_execz .LBB4_9
; %bb.8:
	s_load_dwordx2 s[6:7], s[4:5], 0x248
	s_waitcnt lgkmcnt(0)
	s_add_u32 s10, s12, -1
	v_lshlrev_b64 v[2:3], 3, v[0:1]
	s_addc_u32 s11, s13, -1
	v_mov_b32_e32 v4, s39
	s_mul_i32 s7, s10, s7
	s_mul_hi_u32 s12, s10, s6
	s_mul_i32 s11, s11, s6
	s_add_i32 s7, s12, s7
	v_add_co_u32_e32 v2, vcc, s38, v2
	s_add_i32 s7, s7, s11
	s_mul_i32 s6, s10, s6
	v_addc_co_u32_e32 v3, vcc, v4, v3, vcc
	s_lshl_b64 s[10:11], s[8:9], 3
	v_mov_b32_e32 v4, s11
	v_add_co_u32_e32 v2, vcc, s10, v2
	v_addc_co_u32_e32 v3, vcc, v3, v4, vcc
	s_lshl_b64 s[6:7], s[6:7], 3
	v_mov_b32_e32 v4, s7
	v_add_co_u32_e32 v2, vcc, s6, v2
	v_addc_co_u32_e32 v3, vcc, v3, v4, vcc
	v_mov_b32_e32 v4, 0
	v_mov_b32_e32 v5, 0x3ff00000
	global_store_dwordx2 v[2:3], v[4:5], off
.LBB4_9:
	s_or_b64 exec, exec, s[2:3]
	s_sub_u32 s2, s20, s16
	s_subb_u32 s3, s21, s17
	s_or_b64 s[6:7], s[2:3], s[22:23]
	s_mov_b32 s6, 0
	s_cmp_lg_u64 s[6:7], 0
	s_cbranch_scc0 .LBB4_18
; %bb.10:
	s_ashr_i32 s6, s23, 31
	s_add_u32 s10, s22, s6
	s_mov_b32 s7, s6
	s_addc_u32 s11, s23, s6
	s_waitcnt lgkmcnt(0)
	s_xor_b64 s[12:13], s[10:11], s[6:7]
	v_cvt_f32_u32_e32 v2, s12
	v_cvt_f32_u32_e32 v3, s13
	s_sub_u32 s24, 0, s12
	s_subb_u32 s25, 0, s13
	v_madmk_f32 v2, v3, 0x4f800000, v2
	v_rcp_f32_e32 v2, v2
	v_mul_f32_e32 v2, 0x5f7ffffc, v2
	v_mul_f32_e32 v3, 0x2f800000, v2
	v_trunc_f32_e32 v3, v3
	v_madmk_f32 v2, v3, 0xcf800000, v2
	v_cvt_u32_f32_e32 v3, v3
	v_cvt_u32_f32_e32 v2, v2
	v_readfirstlane_b32 s26, v3
	v_readfirstlane_b32 s20, v2
	s_mul_i32 s21, s24, s26
	s_mul_hi_u32 s28, s24, s20
	s_mul_i32 s27, s25, s20
	s_add_i32 s21, s28, s21
	s_add_i32 s21, s21, s27
	s_mul_i32 s29, s24, s20
	s_mul_i32 s28, s20, s21
	s_mul_hi_u32 s30, s20, s29
	s_mul_hi_u32 s27, s20, s21
	s_add_u32 s28, s30, s28
	s_addc_u32 s27, 0, s27
	s_mul_hi_u32 s31, s26, s29
	s_mul_i32 s29, s26, s29
	s_add_u32 s28, s28, s29
	s_mul_hi_u32 s30, s26, s21
	s_addc_u32 s27, s27, s31
	s_addc_u32 s28, s30, 0
	s_mul_i32 s21, s26, s21
	s_add_u32 s21, s27, s21
	s_addc_u32 s27, 0, s28
	s_add_u32 s28, s20, s21
	s_cselect_b64 s[20:21], -1, 0
	s_cmp_lg_u64 s[20:21], 0
	s_addc_u32 s26, s26, s27
	s_mul_i32 s20, s24, s26
	s_mul_hi_u32 s21, s24, s28
	s_add_i32 s20, s21, s20
	s_mul_i32 s25, s25, s28
	s_add_i32 s20, s20, s25
	s_mul_i32 s24, s24, s28
	s_mul_hi_u32 s25, s26, s24
	s_mul_i32 s27, s26, s24
	s_mul_i32 s30, s28, s20
	s_mul_hi_u32 s24, s28, s24
	s_mul_hi_u32 s29, s28, s20
	s_add_u32 s24, s24, s30
	s_addc_u32 s29, 0, s29
	s_add_u32 s24, s24, s27
	s_mul_hi_u32 s21, s26, s20
	s_addc_u32 s24, s29, s25
	s_addc_u32 s21, s21, 0
	s_mul_i32 s20, s26, s20
	s_add_u32 s20, s24, s20
	s_addc_u32 s24, 0, s21
	s_add_u32 s27, s28, s20
	s_cselect_b64 s[20:21], -1, 0
	s_cmp_lg_u64 s[20:21], 0
	s_addc_u32 s26, s26, s24
	s_ashr_i32 s20, s3, 31
	s_add_u32 s24, s2, s20
	s_mov_b32 s21, s20
	s_addc_u32 s25, s3, s20
	s_xor_b64 s[24:25], s[24:25], s[20:21]
	s_mul_i32 s29, s24, s26
	s_mul_hi_u32 s30, s24, s27
	s_mul_hi_u32 s28, s24, s26
	s_add_u32 s29, s30, s29
	s_addc_u32 s28, 0, s28
	s_mul_hi_u32 s31, s25, s27
	s_mul_i32 s27, s25, s27
	s_add_u32 s27, s29, s27
	s_mul_hi_u32 s30, s25, s26
	s_addc_u32 s27, s28, s31
	s_addc_u32 s28, s30, 0
	s_mul_i32 s26, s25, s26
	s_add_u32 s30, s27, s26
	s_addc_u32 s31, 0, s28
	s_mul_i32 s26, s12, s31
	s_mul_hi_u32 s27, s12, s30
	s_add_i32 s26, s27, s26
	s_mul_i32 s27, s13, s30
	s_add_i32 s33, s26, s27
	s_sub_i32 s28, s25, s33
	s_mul_i32 s26, s12, s30
	s_sub_u32 s24, s24, s26
	s_cselect_b64 s[26:27], -1, 0
	s_cmp_lg_u64 s[26:27], 0
	s_subb_u32 s34, s28, s13
	s_sub_u32 s35, s24, s12
	s_cselect_b64 s[28:29], -1, 0
	s_cmp_lg_u64 s[28:29], 0
	s_subb_u32 s28, s34, 0
	s_cmp_ge_u32 s28, s13
	s_cselect_b32 s29, -1, 0
	s_cmp_ge_u32 s35, s12
	s_cselect_b32 s34, -1, 0
	s_cmp_eq_u32 s28, s13
	s_cselect_b32 s28, s34, s29
	s_add_u32 s29, s30, 1
	s_addc_u32 s34, s31, 0
	s_add_u32 s35, s30, 2
	s_addc_u32 s36, s31, 0
	s_cmp_lg_u32 s28, 0
	s_cselect_b32 s28, s35, s29
	s_cselect_b32 s29, s36, s34
	s_cmp_lg_u64 s[26:27], 0
	s_subb_u32 s25, s25, s33
	s_cmp_ge_u32 s25, s13
	s_cselect_b32 s26, -1, 0
	s_cmp_ge_u32 s24, s12
	s_cselect_b32 s12, -1, 0
	s_cmp_eq_u32 s25, s13
	s_cselect_b32 s12, s12, s26
	s_cmp_lg_u32 s12, 0
	s_cselect_b32 s13, s29, s31
	s_cselect_b32 s12, s28, s30
	s_xor_b64 s[6:7], s[20:21], s[6:7]
	s_xor_b64 s[12:13], s[12:13], s[6:7]
	s_sub_u32 s6, s12, s6
	s_subb_u32 s7, s13, s7
	s_cbranch_execnz .LBB4_12
.LBB4_11:
	v_cvt_f32_u32_e32 v2, s22
	s_sub_i32 s6, 0, s22
	s_mov_b32 s7, 0
	v_rcp_iflag_f32_e32 v2, v2
	v_mul_f32_e32 v2, 0x4f7ffffe, v2
	v_cvt_u32_f32_e32 v2, v2
	v_readfirstlane_b32 s10, v2
	s_mul_i32 s6, s6, s10
	s_mul_hi_u32 s6, s10, s6
	s_add_i32 s10, s10, s6
	s_mul_hi_u32 s6, s2, s10
	s_mul_i32 s11, s6, s22
	s_sub_i32 s11, s2, s11
	s_add_i32 s10, s6, 1
	s_waitcnt lgkmcnt(0)
	s_sub_i32 s12, s11, s22
	s_cmp_ge_u32 s11, s22
	s_cselect_b32 s6, s10, s6
	s_cselect_b32 s11, s12, s11
	s_add_i32 s10, s6, 1
	s_cmp_ge_u32 s11, s22
	s_cselect_b32 s6, s10, s6
.LBB4_12:
	s_mul_i32 s10, s6, s23
	s_mul_hi_u32 s11, s6, s22
	s_add_i32 s10, s11, s10
	s_mul_i32 s11, s7, s22
	s_add_i32 s10, s10, s11
	s_mul_i32 s11, s6, s22
	s_sub_u32 s2, s2, s11
	s_subb_u32 s3, s3, s10
	s_cmp_lg_u64 s[2:3], 0
	s_cselect_b64 s[2:3], -1, 0
	v_cndmask_b32_e64 v2, 0, 1, s[2:3]
	v_mov_b32_e32 v3, s7
	v_add_co_u32_e32 v2, vcc, s6, v2
	v_addc_co_u32_e32 v3, vcc, 0, v3, vcc
	v_cmp_gt_i64_e32 vcc, 1, v[2:3]
	s_cbranch_vccnz .LBB4_17
; %bb.13:
	s_load_dwordx2 s[2:3], s[4:5], 0x2e0
	s_load_dwordx2 s[6:7], s[4:5], 0x310
	v_mov_b32_e32 v5, s9
	v_add_co_u32_e32 v4, vcc, s8, v0
	v_addc_co_u32_e32 v5, vcc, v5, v1, vcc
	s_waitcnt lgkmcnt(0)
	v_mul_lo_u32 v6, s3, v4
	v_mul_lo_u32 v7, s2, v5
	v_mad_u64_u32 v[0:1], s[2:3], s2, v4, 0
	s_load_dwordx2 s[2:3], s[4:5], 0x2c8
	s_load_dwordx2 s[12:13], s[4:5], 0x298
	;; [unrolled: 1-line block ×3, first 2 shown]
	v_mov_b32_e32 v10, s15
	v_add3_u32 v1, v1, v7, v6
	v_lshlrev_b64 v[0:1], 3, v[0:1]
	s_waitcnt lgkmcnt(0)
	v_mov_b32_e32 v6, s3
	v_add_co_u32_e32 v0, vcc, s2, v0
	v_mul_lo_u32 v11, s9, v4
	v_mul_lo_u32 v12, s8, v5
	v_mad_u64_u32 v[8:9], s[2:3], s8, v4, 0
	s_mul_i32 s2, s16, s13
	s_mul_hi_u32 s3, s16, s12
	v_addc_co_u32_e32 v1, vcc, v6, v1, vcc
	v_lshlrev_b64 v[6:7], 3, v[4:5]
	s_add_i32 s2, s3, s2
	s_mul_i32 s3, s17, s12
	s_add_i32 s3, s2, s3
	s_mul_i32 s2, s16, s12
	v_add_co_u32_e32 v4, vcc, s14, v6
	v_add3_u32 v9, v9, v12, v11
	s_lshl_b64 s[8:9], s[2:3], 3
	s_mul_i32 s2, s18, s13
	s_mul_hi_u32 s3, s18, s12
	v_addc_co_u32_e32 v5, vcc, v10, v7, vcc
	v_lshlrev_b64 v[6:7], 3, v[8:9]
	s_add_i32 s2, s3, s2
	s_mul_i32 s3, s19, s12
	s_add_i32 s3, s2, s3
	s_mul_i32 s2, s18, s12
	v_mov_b32_e32 v8, s7
	v_add_co_u32_e32 v6, vcc, s6, v6
	s_lshl_b64 s[4:5], s[16:17], 3
	s_lshl_b64 s[6:7], s[18:19], 3
	;; [unrolled: 1-line block ×3, first 2 shown]
	s_add_u32 s2, s16, 1
	s_addc_u32 s3, s17, 0
	s_mul_i32 s3, s12, s3
	s_mul_hi_u32 s14, s12, s2
	s_add_i32 s3, s14, s3
	s_mul_i32 s13, s13, s2
	s_add_i32 s3, s3, s13
	s_mul_i32 s2, s12, s2
	v_addc_co_u32_e32 v7, vcc, v8, v7, vcc
	s_lshl_b64 s[12:13], s[2:3], 3
	s_branch .LBB4_15
.LBB4_14:                               ;   in Loop: Header=BB4_15 Depth=1
	s_or_b64 exec, exec, s[2:3]
	v_add_co_u32_e32 v2, vcc, -1, v2
	v_addc_co_u32_e32 v3, vcc, -1, v3, vcc
	v_cmp_ne_u64_e32 vcc, 0, v[2:3]
	s_add_u32 s4, s4, s6
	v_mov_b32_e32 v8, s11
	v_add_co_u32_e64 v4, s[2:3], s10, v4
	s_addc_u32 s5, s5, s7
	v_addc_co_u32_e64 v5, s[2:3], v5, v8, s[2:3]
	s_cbranch_vccz .LBB4_17
.LBB4_15:                               ; =>This Inner Loop Header: Depth=1
	s_and_saveexec_b64 s[2:3], s[0:1]
	s_cbranch_execz .LBB4_14
; %bb.16:                               ;   in Loop: Header=BB4_15 Depth=1
	v_mov_b32_e32 v13, s5
	v_add_co_u32_e32 v8, vcc, s4, v0
	v_addc_co_u32_e32 v9, vcc, v1, v13, vcc
	v_mov_b32_e32 v11, s13
	v_add_co_u32_e32 v10, vcc, s12, v4
	v_addc_co_u32_e32 v11, vcc, v5, v11, vcc
	v_add_co_u32_e32 v12, vcc, s4, v6
	v_addc_co_u32_e32 v13, vcc, v7, v13, vcc
	global_load_dwordx2 v[8:9], v[8:9], off
	s_nop 0
	global_load_dwordx2 v[10:11], v[10:11], off
	s_nop 0
	global_load_dwordx2 v[12:13], v[12:13], off
	s_waitcnt vmcnt(0)
	v_fma_f64 v[8:9], v[8:9], v[10:11], v[12:13]
	v_mov_b32_e32 v11, s9
	v_add_co_u32_e32 v10, vcc, s8, v4
	v_addc_co_u32_e32 v11, vcc, v5, v11, vcc
	global_store_dwordx2 v[10:11], v[8:9], off
	s_branch .LBB4_14
.LBB4_17:
	s_endpgm
.LBB4_18:
                                        ; implicit-def: $sgpr6_sgpr7
	s_branch .LBB4_11
	.section	.rodata,"a",@progbits
	.p2align	6, 0x0
	.amdhsa_kernel _ZN4RAJA8internal22HipKernelLauncherFixedILi256ENS0_8LoopDataIN4camp5tupleIJNS_4SpanINS_9Iterators16numeric_iteratorIllPlEElEESA_NS5_INS6_24strided_numeric_iteratorIllS8_EElEEEEENS4_IJEEENS3_9resources2v13HipEJZN8rajaperf9polybench13POLYBENCH_ADI17runHipVariantImplILm256EEEvNSJ_9VariantIDEEUllE1_ZNSM_ILm256EEEvSN_EUlllE_ZNSM_ILm256EEEvSN_EUllE2_ZNSM_ILm256EEEvSN_EUlllE0_EEENS0_24HipStatementListExecutorISS_NS3_4listIJNS_9statement3ForILl0ENS_6policy3hip11hip_indexerINS_17iteration_mapping6DirectELNS_23kernel_sync_requirementE0EJNS_3hip11IndexGlobalILNS_9named_dimE0ELi256ELi0EEEEEEJNSV_6LambdaILl0EJNSU_IJNS0_9LambdaArgINS0_16lambda_arg_seg_tELl0EEEEEEEEENSW_ILl1ENSX_10sequential8seq_execEJNS18_ILl1EJNSU_IJS1B_NS19_IS1A_Ll1EEEEEEEEEEEENS18_ILl2EJS1C_EEENSW_ILl2ES1F_JNS18_ILl3EJNSU_IJS1B_NS19_IS1A_Ll2EEEEEEEEEEEEEEEEEENS0_9LoopTypesINSU_IJvvvEEES1S_EEEEEEvT0_
		.amdhsa_group_segment_fixed_size 0
		.amdhsa_private_segment_fixed_size 0
		.amdhsa_kernarg_size 896
		.amdhsa_user_sgpr_count 6
		.amdhsa_user_sgpr_private_segment_buffer 1
		.amdhsa_user_sgpr_dispatch_ptr 0
		.amdhsa_user_sgpr_queue_ptr 0
		.amdhsa_user_sgpr_kernarg_segment_ptr 1
		.amdhsa_user_sgpr_dispatch_id 0
		.amdhsa_user_sgpr_flat_scratch_init 0
		.amdhsa_user_sgpr_private_segment_size 0
		.amdhsa_uses_dynamic_stack 0
		.amdhsa_system_sgpr_private_segment_wavefront_offset 0
		.amdhsa_system_sgpr_workgroup_id_x 1
		.amdhsa_system_sgpr_workgroup_id_y 0
		.amdhsa_system_sgpr_workgroup_id_z 0
		.amdhsa_system_sgpr_workgroup_info 0
		.amdhsa_system_vgpr_workitem_id 0
		.amdhsa_next_free_vgpr 22
		.amdhsa_next_free_sgpr 44
		.amdhsa_reserve_vcc 1
		.amdhsa_reserve_flat_scratch 0
		.amdhsa_float_round_mode_32 0
		.amdhsa_float_round_mode_16_64 0
		.amdhsa_float_denorm_mode_32 3
		.amdhsa_float_denorm_mode_16_64 3
		.amdhsa_dx10_clamp 1
		.amdhsa_ieee_mode 1
		.amdhsa_fp16_overflow 0
		.amdhsa_exception_fp_ieee_invalid_op 0
		.amdhsa_exception_fp_denorm_src 0
		.amdhsa_exception_fp_ieee_div_zero 0
		.amdhsa_exception_fp_ieee_overflow 0
		.amdhsa_exception_fp_ieee_underflow 0
		.amdhsa_exception_fp_ieee_inexact 0
		.amdhsa_exception_int_div_zero 0
	.end_amdhsa_kernel
	.section	.text._ZN4RAJA8internal22HipKernelLauncherFixedILi256ENS0_8LoopDataIN4camp5tupleIJNS_4SpanINS_9Iterators16numeric_iteratorIllPlEElEESA_NS5_INS6_24strided_numeric_iteratorIllS8_EElEEEEENS4_IJEEENS3_9resources2v13HipEJZN8rajaperf9polybench13POLYBENCH_ADI17runHipVariantImplILm256EEEvNSJ_9VariantIDEEUllE1_ZNSM_ILm256EEEvSN_EUlllE_ZNSM_ILm256EEEvSN_EUllE2_ZNSM_ILm256EEEvSN_EUlllE0_EEENS0_24HipStatementListExecutorISS_NS3_4listIJNS_9statement3ForILl0ENS_6policy3hip11hip_indexerINS_17iteration_mapping6DirectELNS_23kernel_sync_requirementE0EJNS_3hip11IndexGlobalILNS_9named_dimE0ELi256ELi0EEEEEEJNSV_6LambdaILl0EJNSU_IJNS0_9LambdaArgINS0_16lambda_arg_seg_tELl0EEEEEEEEENSW_ILl1ENSX_10sequential8seq_execEJNS18_ILl1EJNSU_IJS1B_NS19_IS1A_Ll1EEEEEEEEEEEENS18_ILl2EJS1C_EEENSW_ILl2ES1F_JNS18_ILl3EJNSU_IJS1B_NS19_IS1A_Ll2EEEEEEEEEEEEEEEEEENS0_9LoopTypesINSU_IJvvvEEES1S_EEEEEEvT0_,"axG",@progbits,_ZN4RAJA8internal22HipKernelLauncherFixedILi256ENS0_8LoopDataIN4camp5tupleIJNS_4SpanINS_9Iterators16numeric_iteratorIllPlEElEESA_NS5_INS6_24strided_numeric_iteratorIllS8_EElEEEEENS4_IJEEENS3_9resources2v13HipEJZN8rajaperf9polybench13POLYBENCH_ADI17runHipVariantImplILm256EEEvNSJ_9VariantIDEEUllE1_ZNSM_ILm256EEEvSN_EUlllE_ZNSM_ILm256EEEvSN_EUllE2_ZNSM_ILm256EEEvSN_EUlllE0_EEENS0_24HipStatementListExecutorISS_NS3_4listIJNS_9statement3ForILl0ENS_6policy3hip11hip_indexerINS_17iteration_mapping6DirectELNS_23kernel_sync_requirementE0EJNS_3hip11IndexGlobalILNS_9named_dimE0ELi256ELi0EEEEEEJNSV_6LambdaILl0EJNSU_IJNS0_9LambdaArgINS0_16lambda_arg_seg_tELl0EEEEEEEEENSW_ILl1ENSX_10sequential8seq_execEJNS18_ILl1EJNSU_IJS1B_NS19_IS1A_Ll1EEEEEEEEEEEENS18_ILl2EJS1C_EEENSW_ILl2ES1F_JNS18_ILl3EJNSU_IJS1B_NS19_IS1A_Ll2EEEEEEEEEEEEEEEEEENS0_9LoopTypesINSU_IJvvvEEES1S_EEEEEEvT0_,comdat
.Lfunc_end4:
	.size	_ZN4RAJA8internal22HipKernelLauncherFixedILi256ENS0_8LoopDataIN4camp5tupleIJNS_4SpanINS_9Iterators16numeric_iteratorIllPlEElEESA_NS5_INS6_24strided_numeric_iteratorIllS8_EElEEEEENS4_IJEEENS3_9resources2v13HipEJZN8rajaperf9polybench13POLYBENCH_ADI17runHipVariantImplILm256EEEvNSJ_9VariantIDEEUllE1_ZNSM_ILm256EEEvSN_EUlllE_ZNSM_ILm256EEEvSN_EUllE2_ZNSM_ILm256EEEvSN_EUlllE0_EEENS0_24HipStatementListExecutorISS_NS3_4listIJNS_9statement3ForILl0ENS_6policy3hip11hip_indexerINS_17iteration_mapping6DirectELNS_23kernel_sync_requirementE0EJNS_3hip11IndexGlobalILNS_9named_dimE0ELi256ELi0EEEEEEJNSV_6LambdaILl0EJNSU_IJNS0_9LambdaArgINS0_16lambda_arg_seg_tELl0EEEEEEEEENSW_ILl1ENSX_10sequential8seq_execEJNS18_ILl1EJNSU_IJS1B_NS19_IS1A_Ll1EEEEEEEEEEEENS18_ILl2EJS1C_EEENSW_ILl2ES1F_JNS18_ILl3EJNSU_IJS1B_NS19_IS1A_Ll2EEEEEEEEEEEEEEEEEENS0_9LoopTypesINSU_IJvvvEEES1S_EEEEEEvT0_, .Lfunc_end4-_ZN4RAJA8internal22HipKernelLauncherFixedILi256ENS0_8LoopDataIN4camp5tupleIJNS_4SpanINS_9Iterators16numeric_iteratorIllPlEElEESA_NS5_INS6_24strided_numeric_iteratorIllS8_EElEEEEENS4_IJEEENS3_9resources2v13HipEJZN8rajaperf9polybench13POLYBENCH_ADI17runHipVariantImplILm256EEEvNSJ_9VariantIDEEUllE1_ZNSM_ILm256EEEvSN_EUlllE_ZNSM_ILm256EEEvSN_EUllE2_ZNSM_ILm256EEEvSN_EUlllE0_EEENS0_24HipStatementListExecutorISS_NS3_4listIJNS_9statement3ForILl0ENS_6policy3hip11hip_indexerINS_17iteration_mapping6DirectELNS_23kernel_sync_requirementE0EJNS_3hip11IndexGlobalILNS_9named_dimE0ELi256ELi0EEEEEEJNSV_6LambdaILl0EJNSU_IJNS0_9LambdaArgINS0_16lambda_arg_seg_tELl0EEEEEEEEENSW_ILl1ENSX_10sequential8seq_execEJNS18_ILl1EJNSU_IJS1B_NS19_IS1A_Ll1EEEEEEEEEEEENS18_ILl2EJS1C_EEENSW_ILl2ES1F_JNS18_ILl3EJNSU_IJS1B_NS19_IS1A_Ll2EEEEEEEEEEEEEEEEEENS0_9LoopTypesINSU_IJvvvEEES1S_EEEEEEvT0_
                                        ; -- End function
	.set _ZN4RAJA8internal22HipKernelLauncherFixedILi256ENS0_8LoopDataIN4camp5tupleIJNS_4SpanINS_9Iterators16numeric_iteratorIllPlEElEESA_NS5_INS6_24strided_numeric_iteratorIllS8_EElEEEEENS4_IJEEENS3_9resources2v13HipEJZN8rajaperf9polybench13POLYBENCH_ADI17runHipVariantImplILm256EEEvNSJ_9VariantIDEEUllE1_ZNSM_ILm256EEEvSN_EUlllE_ZNSM_ILm256EEEvSN_EUllE2_ZNSM_ILm256EEEvSN_EUlllE0_EEENS0_24HipStatementListExecutorISS_NS3_4listIJNS_9statement3ForILl0ENS_6policy3hip11hip_indexerINS_17iteration_mapping6DirectELNS_23kernel_sync_requirementE0EJNS_3hip11IndexGlobalILNS_9named_dimE0ELi256ELi0EEEEEEJNSV_6LambdaILl0EJNSU_IJNS0_9LambdaArgINS0_16lambda_arg_seg_tELl0EEEEEEEEENSW_ILl1ENSX_10sequential8seq_execEJNS18_ILl1EJNSU_IJS1B_NS19_IS1A_Ll1EEEEEEEEEEEENS18_ILl2EJS1C_EEENSW_ILl2ES1F_JNS18_ILl3EJNSU_IJS1B_NS19_IS1A_Ll2EEEEEEEEEEEEEEEEEENS0_9LoopTypesINSU_IJvvvEEES1S_EEEEEEvT0_.num_vgpr, 22
	.set _ZN4RAJA8internal22HipKernelLauncherFixedILi256ENS0_8LoopDataIN4camp5tupleIJNS_4SpanINS_9Iterators16numeric_iteratorIllPlEElEESA_NS5_INS6_24strided_numeric_iteratorIllS8_EElEEEEENS4_IJEEENS3_9resources2v13HipEJZN8rajaperf9polybench13POLYBENCH_ADI17runHipVariantImplILm256EEEvNSJ_9VariantIDEEUllE1_ZNSM_ILm256EEEvSN_EUlllE_ZNSM_ILm256EEEvSN_EUllE2_ZNSM_ILm256EEEvSN_EUlllE0_EEENS0_24HipStatementListExecutorISS_NS3_4listIJNS_9statement3ForILl0ENS_6policy3hip11hip_indexerINS_17iteration_mapping6DirectELNS_23kernel_sync_requirementE0EJNS_3hip11IndexGlobalILNS_9named_dimE0ELi256ELi0EEEEEEJNSV_6LambdaILl0EJNSU_IJNS0_9LambdaArgINS0_16lambda_arg_seg_tELl0EEEEEEEEENSW_ILl1ENSX_10sequential8seq_execEJNS18_ILl1EJNSU_IJS1B_NS19_IS1A_Ll1EEEEEEEEEEEENS18_ILl2EJS1C_EEENSW_ILl2ES1F_JNS18_ILl3EJNSU_IJS1B_NS19_IS1A_Ll2EEEEEEEEEEEEEEEEEENS0_9LoopTypesINSU_IJvvvEEES1S_EEEEEEvT0_.num_agpr, 0
	.set _ZN4RAJA8internal22HipKernelLauncherFixedILi256ENS0_8LoopDataIN4camp5tupleIJNS_4SpanINS_9Iterators16numeric_iteratorIllPlEElEESA_NS5_INS6_24strided_numeric_iteratorIllS8_EElEEEEENS4_IJEEENS3_9resources2v13HipEJZN8rajaperf9polybench13POLYBENCH_ADI17runHipVariantImplILm256EEEvNSJ_9VariantIDEEUllE1_ZNSM_ILm256EEEvSN_EUlllE_ZNSM_ILm256EEEvSN_EUllE2_ZNSM_ILm256EEEvSN_EUlllE0_EEENS0_24HipStatementListExecutorISS_NS3_4listIJNS_9statement3ForILl0ENS_6policy3hip11hip_indexerINS_17iteration_mapping6DirectELNS_23kernel_sync_requirementE0EJNS_3hip11IndexGlobalILNS_9named_dimE0ELi256ELi0EEEEEEJNSV_6LambdaILl0EJNSU_IJNS0_9LambdaArgINS0_16lambda_arg_seg_tELl0EEEEEEEEENSW_ILl1ENSX_10sequential8seq_execEJNS18_ILl1EJNSU_IJS1B_NS19_IS1A_Ll1EEEEEEEEEEEENS18_ILl2EJS1C_EEENSW_ILl2ES1F_JNS18_ILl3EJNSU_IJS1B_NS19_IS1A_Ll2EEEEEEEEEEEEEEEEEENS0_9LoopTypesINSU_IJvvvEEES1S_EEEEEEvT0_.numbered_sgpr, 44
	.set _ZN4RAJA8internal22HipKernelLauncherFixedILi256ENS0_8LoopDataIN4camp5tupleIJNS_4SpanINS_9Iterators16numeric_iteratorIllPlEElEESA_NS5_INS6_24strided_numeric_iteratorIllS8_EElEEEEENS4_IJEEENS3_9resources2v13HipEJZN8rajaperf9polybench13POLYBENCH_ADI17runHipVariantImplILm256EEEvNSJ_9VariantIDEEUllE1_ZNSM_ILm256EEEvSN_EUlllE_ZNSM_ILm256EEEvSN_EUllE2_ZNSM_ILm256EEEvSN_EUlllE0_EEENS0_24HipStatementListExecutorISS_NS3_4listIJNS_9statement3ForILl0ENS_6policy3hip11hip_indexerINS_17iteration_mapping6DirectELNS_23kernel_sync_requirementE0EJNS_3hip11IndexGlobalILNS_9named_dimE0ELi256ELi0EEEEEEJNSV_6LambdaILl0EJNSU_IJNS0_9LambdaArgINS0_16lambda_arg_seg_tELl0EEEEEEEEENSW_ILl1ENSX_10sequential8seq_execEJNS18_ILl1EJNSU_IJS1B_NS19_IS1A_Ll1EEEEEEEEEEEENS18_ILl2EJS1C_EEENSW_ILl2ES1F_JNS18_ILl3EJNSU_IJS1B_NS19_IS1A_Ll2EEEEEEEEEEEEEEEEEENS0_9LoopTypesINSU_IJvvvEEES1S_EEEEEEvT0_.num_named_barrier, 0
	.set _ZN4RAJA8internal22HipKernelLauncherFixedILi256ENS0_8LoopDataIN4camp5tupleIJNS_4SpanINS_9Iterators16numeric_iteratorIllPlEElEESA_NS5_INS6_24strided_numeric_iteratorIllS8_EElEEEEENS4_IJEEENS3_9resources2v13HipEJZN8rajaperf9polybench13POLYBENCH_ADI17runHipVariantImplILm256EEEvNSJ_9VariantIDEEUllE1_ZNSM_ILm256EEEvSN_EUlllE_ZNSM_ILm256EEEvSN_EUllE2_ZNSM_ILm256EEEvSN_EUlllE0_EEENS0_24HipStatementListExecutorISS_NS3_4listIJNS_9statement3ForILl0ENS_6policy3hip11hip_indexerINS_17iteration_mapping6DirectELNS_23kernel_sync_requirementE0EJNS_3hip11IndexGlobalILNS_9named_dimE0ELi256ELi0EEEEEEJNSV_6LambdaILl0EJNSU_IJNS0_9LambdaArgINS0_16lambda_arg_seg_tELl0EEEEEEEEENSW_ILl1ENSX_10sequential8seq_execEJNS18_ILl1EJNSU_IJS1B_NS19_IS1A_Ll1EEEEEEEEEEEENS18_ILl2EJS1C_EEENSW_ILl2ES1F_JNS18_ILl3EJNSU_IJS1B_NS19_IS1A_Ll2EEEEEEEEEEEEEEEEEENS0_9LoopTypesINSU_IJvvvEEES1S_EEEEEEvT0_.private_seg_size, 0
	.set _ZN4RAJA8internal22HipKernelLauncherFixedILi256ENS0_8LoopDataIN4camp5tupleIJNS_4SpanINS_9Iterators16numeric_iteratorIllPlEElEESA_NS5_INS6_24strided_numeric_iteratorIllS8_EElEEEEENS4_IJEEENS3_9resources2v13HipEJZN8rajaperf9polybench13POLYBENCH_ADI17runHipVariantImplILm256EEEvNSJ_9VariantIDEEUllE1_ZNSM_ILm256EEEvSN_EUlllE_ZNSM_ILm256EEEvSN_EUllE2_ZNSM_ILm256EEEvSN_EUlllE0_EEENS0_24HipStatementListExecutorISS_NS3_4listIJNS_9statement3ForILl0ENS_6policy3hip11hip_indexerINS_17iteration_mapping6DirectELNS_23kernel_sync_requirementE0EJNS_3hip11IndexGlobalILNS_9named_dimE0ELi256ELi0EEEEEEJNSV_6LambdaILl0EJNSU_IJNS0_9LambdaArgINS0_16lambda_arg_seg_tELl0EEEEEEEEENSW_ILl1ENSX_10sequential8seq_execEJNS18_ILl1EJNSU_IJS1B_NS19_IS1A_Ll1EEEEEEEEEEEENS18_ILl2EJS1C_EEENSW_ILl2ES1F_JNS18_ILl3EJNSU_IJS1B_NS19_IS1A_Ll2EEEEEEEEEEEEEEEEEENS0_9LoopTypesINSU_IJvvvEEES1S_EEEEEEvT0_.uses_vcc, 1
	.set _ZN4RAJA8internal22HipKernelLauncherFixedILi256ENS0_8LoopDataIN4camp5tupleIJNS_4SpanINS_9Iterators16numeric_iteratorIllPlEElEESA_NS5_INS6_24strided_numeric_iteratorIllS8_EElEEEEENS4_IJEEENS3_9resources2v13HipEJZN8rajaperf9polybench13POLYBENCH_ADI17runHipVariantImplILm256EEEvNSJ_9VariantIDEEUllE1_ZNSM_ILm256EEEvSN_EUlllE_ZNSM_ILm256EEEvSN_EUllE2_ZNSM_ILm256EEEvSN_EUlllE0_EEENS0_24HipStatementListExecutorISS_NS3_4listIJNS_9statement3ForILl0ENS_6policy3hip11hip_indexerINS_17iteration_mapping6DirectELNS_23kernel_sync_requirementE0EJNS_3hip11IndexGlobalILNS_9named_dimE0ELi256ELi0EEEEEEJNSV_6LambdaILl0EJNSU_IJNS0_9LambdaArgINS0_16lambda_arg_seg_tELl0EEEEEEEEENSW_ILl1ENSX_10sequential8seq_execEJNS18_ILl1EJNSU_IJS1B_NS19_IS1A_Ll1EEEEEEEEEEEENS18_ILl2EJS1C_EEENSW_ILl2ES1F_JNS18_ILl3EJNSU_IJS1B_NS19_IS1A_Ll2EEEEEEEEEEEEEEEEEENS0_9LoopTypesINSU_IJvvvEEES1S_EEEEEEvT0_.uses_flat_scratch, 0
	.set _ZN4RAJA8internal22HipKernelLauncherFixedILi256ENS0_8LoopDataIN4camp5tupleIJNS_4SpanINS_9Iterators16numeric_iteratorIllPlEElEESA_NS5_INS6_24strided_numeric_iteratorIllS8_EElEEEEENS4_IJEEENS3_9resources2v13HipEJZN8rajaperf9polybench13POLYBENCH_ADI17runHipVariantImplILm256EEEvNSJ_9VariantIDEEUllE1_ZNSM_ILm256EEEvSN_EUlllE_ZNSM_ILm256EEEvSN_EUllE2_ZNSM_ILm256EEEvSN_EUlllE0_EEENS0_24HipStatementListExecutorISS_NS3_4listIJNS_9statement3ForILl0ENS_6policy3hip11hip_indexerINS_17iteration_mapping6DirectELNS_23kernel_sync_requirementE0EJNS_3hip11IndexGlobalILNS_9named_dimE0ELi256ELi0EEEEEEJNSV_6LambdaILl0EJNSU_IJNS0_9LambdaArgINS0_16lambda_arg_seg_tELl0EEEEEEEEENSW_ILl1ENSX_10sequential8seq_execEJNS18_ILl1EJNSU_IJS1B_NS19_IS1A_Ll1EEEEEEEEEEEENS18_ILl2EJS1C_EEENSW_ILl2ES1F_JNS18_ILl3EJNSU_IJS1B_NS19_IS1A_Ll2EEEEEEEEEEEEEEEEEENS0_9LoopTypesINSU_IJvvvEEES1S_EEEEEEvT0_.has_dyn_sized_stack, 0
	.set _ZN4RAJA8internal22HipKernelLauncherFixedILi256ENS0_8LoopDataIN4camp5tupleIJNS_4SpanINS_9Iterators16numeric_iteratorIllPlEElEESA_NS5_INS6_24strided_numeric_iteratorIllS8_EElEEEEENS4_IJEEENS3_9resources2v13HipEJZN8rajaperf9polybench13POLYBENCH_ADI17runHipVariantImplILm256EEEvNSJ_9VariantIDEEUllE1_ZNSM_ILm256EEEvSN_EUlllE_ZNSM_ILm256EEEvSN_EUllE2_ZNSM_ILm256EEEvSN_EUlllE0_EEENS0_24HipStatementListExecutorISS_NS3_4listIJNS_9statement3ForILl0ENS_6policy3hip11hip_indexerINS_17iteration_mapping6DirectELNS_23kernel_sync_requirementE0EJNS_3hip11IndexGlobalILNS_9named_dimE0ELi256ELi0EEEEEEJNSV_6LambdaILl0EJNSU_IJNS0_9LambdaArgINS0_16lambda_arg_seg_tELl0EEEEEEEEENSW_ILl1ENSX_10sequential8seq_execEJNS18_ILl1EJNSU_IJS1B_NS19_IS1A_Ll1EEEEEEEEEEEENS18_ILl2EJS1C_EEENSW_ILl2ES1F_JNS18_ILl3EJNSU_IJS1B_NS19_IS1A_Ll2EEEEEEEEEEEEEEEEEENS0_9LoopTypesINSU_IJvvvEEES1S_EEEEEEvT0_.has_recursion, 0
	.set _ZN4RAJA8internal22HipKernelLauncherFixedILi256ENS0_8LoopDataIN4camp5tupleIJNS_4SpanINS_9Iterators16numeric_iteratorIllPlEElEESA_NS5_INS6_24strided_numeric_iteratorIllS8_EElEEEEENS4_IJEEENS3_9resources2v13HipEJZN8rajaperf9polybench13POLYBENCH_ADI17runHipVariantImplILm256EEEvNSJ_9VariantIDEEUllE1_ZNSM_ILm256EEEvSN_EUlllE_ZNSM_ILm256EEEvSN_EUllE2_ZNSM_ILm256EEEvSN_EUlllE0_EEENS0_24HipStatementListExecutorISS_NS3_4listIJNS_9statement3ForILl0ENS_6policy3hip11hip_indexerINS_17iteration_mapping6DirectELNS_23kernel_sync_requirementE0EJNS_3hip11IndexGlobalILNS_9named_dimE0ELi256ELi0EEEEEEJNSV_6LambdaILl0EJNSU_IJNS0_9LambdaArgINS0_16lambda_arg_seg_tELl0EEEEEEEEENSW_ILl1ENSX_10sequential8seq_execEJNS18_ILl1EJNSU_IJS1B_NS19_IS1A_Ll1EEEEEEEEEEEENS18_ILl2EJS1C_EEENSW_ILl2ES1F_JNS18_ILl3EJNSU_IJS1B_NS19_IS1A_Ll2EEEEEEEEEEEEEEEEEENS0_9LoopTypesINSU_IJvvvEEES1S_EEEEEEvT0_.has_indirect_call, 0
	.section	.AMDGPU.csdata,"",@progbits
; Kernel info:
; codeLenInByte = 2300
; TotalNumSgprs: 48
; NumVgprs: 22
; ScratchSize: 0
; MemoryBound: 1
; FloatMode: 240
; IeeeMode: 1
; LDSByteSize: 0 bytes/workgroup (compile time only)
; SGPRBlocks: 5
; VGPRBlocks: 5
; NumSGPRsForWavesPerEU: 48
; NumVGPRsForWavesPerEU: 22
; Occupancy: 10
; WaveLimiterHint : 0
; COMPUTE_PGM_RSRC2:SCRATCH_EN: 0
; COMPUTE_PGM_RSRC2:USER_SGPR: 6
; COMPUTE_PGM_RSRC2:TRAP_HANDLER: 0
; COMPUTE_PGM_RSRC2:TGID_X_EN: 1
; COMPUTE_PGM_RSRC2:TGID_Y_EN: 0
; COMPUTE_PGM_RSRC2:TGID_Z_EN: 0
; COMPUTE_PGM_RSRC2:TIDIG_COMP_CNT: 0
	.section	.text._ZN4RAJA8internal22HipKernelLauncherFixedILi256ENS0_8LoopDataIN4camp5tupleIJNS_4SpanINS_9Iterators16numeric_iteratorIllPlEElEESA_NS5_INS6_24strided_numeric_iteratorIllS8_EElEEEEENS4_IJEEENS3_9resources2v13HipEJZN8rajaperf9polybench13POLYBENCH_ADI17runHipVariantImplILm256EEEvNSJ_9VariantIDEEUllE3_ZNSM_ILm256EEEvSN_EUlllE1_ZNSM_ILm256EEEvSN_EUllE4_ZNSM_ILm256EEEvSN_EUlllE2_EEENS0_24HipStatementListExecutorISS_NS3_4listIJNS_9statement3ForILl0ENS_6policy3hip11hip_indexerINS_17iteration_mapping6DirectELNS_23kernel_sync_requirementE0EJNS_3hip11IndexGlobalILNS_9named_dimE0ELi256ELi0EEEEEEJNSV_6LambdaILl0EJNSU_IJNS0_9LambdaArgINS0_16lambda_arg_seg_tELl0EEEEEEEEENSW_ILl1ENSX_10sequential8seq_execEJNS18_ILl1EJNSU_IJS1B_NS19_IS1A_Ll1EEEEEEEEEEEENS18_ILl2EJS1C_EEENSW_ILl2ES1F_JNS18_ILl3EJNSU_IJS1B_NS19_IS1A_Ll2EEEEEEEEEEEEEEEEEENS0_9LoopTypesINSU_IJvvvEEES1S_EEEEEEvT0_,"axG",@progbits,_ZN4RAJA8internal22HipKernelLauncherFixedILi256ENS0_8LoopDataIN4camp5tupleIJNS_4SpanINS_9Iterators16numeric_iteratorIllPlEElEESA_NS5_INS6_24strided_numeric_iteratorIllS8_EElEEEEENS4_IJEEENS3_9resources2v13HipEJZN8rajaperf9polybench13POLYBENCH_ADI17runHipVariantImplILm256EEEvNSJ_9VariantIDEEUllE3_ZNSM_ILm256EEEvSN_EUlllE1_ZNSM_ILm256EEEvSN_EUllE4_ZNSM_ILm256EEEvSN_EUlllE2_EEENS0_24HipStatementListExecutorISS_NS3_4listIJNS_9statement3ForILl0ENS_6policy3hip11hip_indexerINS_17iteration_mapping6DirectELNS_23kernel_sync_requirementE0EJNS_3hip11IndexGlobalILNS_9named_dimE0ELi256ELi0EEEEEEJNSV_6LambdaILl0EJNSU_IJNS0_9LambdaArgINS0_16lambda_arg_seg_tELl0EEEEEEEEENSW_ILl1ENSX_10sequential8seq_execEJNS18_ILl1EJNSU_IJS1B_NS19_IS1A_Ll1EEEEEEEEEEEENS18_ILl2EJS1C_EEENSW_ILl2ES1F_JNS18_ILl3EJNSU_IJS1B_NS19_IS1A_Ll2EEEEEEEEEEEEEEEEEENS0_9LoopTypesINSU_IJvvvEEES1S_EEEEEEvT0_,comdat
	.protected	_ZN4RAJA8internal22HipKernelLauncherFixedILi256ENS0_8LoopDataIN4camp5tupleIJNS_4SpanINS_9Iterators16numeric_iteratorIllPlEElEESA_NS5_INS6_24strided_numeric_iteratorIllS8_EElEEEEENS4_IJEEENS3_9resources2v13HipEJZN8rajaperf9polybench13POLYBENCH_ADI17runHipVariantImplILm256EEEvNSJ_9VariantIDEEUllE3_ZNSM_ILm256EEEvSN_EUlllE1_ZNSM_ILm256EEEvSN_EUllE4_ZNSM_ILm256EEEvSN_EUlllE2_EEENS0_24HipStatementListExecutorISS_NS3_4listIJNS_9statement3ForILl0ENS_6policy3hip11hip_indexerINS_17iteration_mapping6DirectELNS_23kernel_sync_requirementE0EJNS_3hip11IndexGlobalILNS_9named_dimE0ELi256ELi0EEEEEEJNSV_6LambdaILl0EJNSU_IJNS0_9LambdaArgINS0_16lambda_arg_seg_tELl0EEEEEEEEENSW_ILl1ENSX_10sequential8seq_execEJNS18_ILl1EJNSU_IJS1B_NS19_IS1A_Ll1EEEEEEEEEEEENS18_ILl2EJS1C_EEENSW_ILl2ES1F_JNS18_ILl3EJNSU_IJS1B_NS19_IS1A_Ll2EEEEEEEEEEEEEEEEEENS0_9LoopTypesINSU_IJvvvEEES1S_EEEEEEvT0_ ; -- Begin function _ZN4RAJA8internal22HipKernelLauncherFixedILi256ENS0_8LoopDataIN4camp5tupleIJNS_4SpanINS_9Iterators16numeric_iteratorIllPlEElEESA_NS5_INS6_24strided_numeric_iteratorIllS8_EElEEEEENS4_IJEEENS3_9resources2v13HipEJZN8rajaperf9polybench13POLYBENCH_ADI17runHipVariantImplILm256EEEvNSJ_9VariantIDEEUllE3_ZNSM_ILm256EEEvSN_EUlllE1_ZNSM_ILm256EEEvSN_EUllE4_ZNSM_ILm256EEEvSN_EUlllE2_EEENS0_24HipStatementListExecutorISS_NS3_4listIJNS_9statement3ForILl0ENS_6policy3hip11hip_indexerINS_17iteration_mapping6DirectELNS_23kernel_sync_requirementE0EJNS_3hip11IndexGlobalILNS_9named_dimE0ELi256ELi0EEEEEEJNSV_6LambdaILl0EJNSU_IJNS0_9LambdaArgINS0_16lambda_arg_seg_tELl0EEEEEEEEENSW_ILl1ENSX_10sequential8seq_execEJNS18_ILl1EJNSU_IJS1B_NS19_IS1A_Ll1EEEEEEEEEEEENS18_ILl2EJS1C_EEENSW_ILl2ES1F_JNS18_ILl3EJNSU_IJS1B_NS19_IS1A_Ll2EEEEEEEEEEEEEEEEEENS0_9LoopTypesINSU_IJvvvEEES1S_EEEEEEvT0_
	.globl	_ZN4RAJA8internal22HipKernelLauncherFixedILi256ENS0_8LoopDataIN4camp5tupleIJNS_4SpanINS_9Iterators16numeric_iteratorIllPlEElEESA_NS5_INS6_24strided_numeric_iteratorIllS8_EElEEEEENS4_IJEEENS3_9resources2v13HipEJZN8rajaperf9polybench13POLYBENCH_ADI17runHipVariantImplILm256EEEvNSJ_9VariantIDEEUllE3_ZNSM_ILm256EEEvSN_EUlllE1_ZNSM_ILm256EEEvSN_EUllE4_ZNSM_ILm256EEEvSN_EUlllE2_EEENS0_24HipStatementListExecutorISS_NS3_4listIJNS_9statement3ForILl0ENS_6policy3hip11hip_indexerINS_17iteration_mapping6DirectELNS_23kernel_sync_requirementE0EJNS_3hip11IndexGlobalILNS_9named_dimE0ELi256ELi0EEEEEEJNSV_6LambdaILl0EJNSU_IJNS0_9LambdaArgINS0_16lambda_arg_seg_tELl0EEEEEEEEENSW_ILl1ENSX_10sequential8seq_execEJNS18_ILl1EJNSU_IJS1B_NS19_IS1A_Ll1EEEEEEEEEEEENS18_ILl2EJS1C_EEENSW_ILl2ES1F_JNS18_ILl3EJNSU_IJS1B_NS19_IS1A_Ll2EEEEEEEEEEEEEEEEEENS0_9LoopTypesINSU_IJvvvEEES1S_EEEEEEvT0_
	.p2align	8
	.type	_ZN4RAJA8internal22HipKernelLauncherFixedILi256ENS0_8LoopDataIN4camp5tupleIJNS_4SpanINS_9Iterators16numeric_iteratorIllPlEElEESA_NS5_INS6_24strided_numeric_iteratorIllS8_EElEEEEENS4_IJEEENS3_9resources2v13HipEJZN8rajaperf9polybench13POLYBENCH_ADI17runHipVariantImplILm256EEEvNSJ_9VariantIDEEUllE3_ZNSM_ILm256EEEvSN_EUlllE1_ZNSM_ILm256EEEvSN_EUllE4_ZNSM_ILm256EEEvSN_EUlllE2_EEENS0_24HipStatementListExecutorISS_NS3_4listIJNS_9statement3ForILl0ENS_6policy3hip11hip_indexerINS_17iteration_mapping6DirectELNS_23kernel_sync_requirementE0EJNS_3hip11IndexGlobalILNS_9named_dimE0ELi256ELi0EEEEEEJNSV_6LambdaILl0EJNSU_IJNS0_9LambdaArgINS0_16lambda_arg_seg_tELl0EEEEEEEEENSW_ILl1ENSX_10sequential8seq_execEJNS18_ILl1EJNSU_IJS1B_NS19_IS1A_Ll1EEEEEEEEEEEENS18_ILl2EJS1C_EEENSW_ILl2ES1F_JNS18_ILl3EJNSU_IJS1B_NS19_IS1A_Ll2EEEEEEEEEEEEEEEEEENS0_9LoopTypesINSU_IJvvvEEES1S_EEEEEEvT0_,@function
_ZN4RAJA8internal22HipKernelLauncherFixedILi256ENS0_8LoopDataIN4camp5tupleIJNS_4SpanINS_9Iterators16numeric_iteratorIllPlEElEESA_NS5_INS6_24strided_numeric_iteratorIllS8_EElEEEEENS4_IJEEENS3_9resources2v13HipEJZN8rajaperf9polybench13POLYBENCH_ADI17runHipVariantImplILm256EEEvNSJ_9VariantIDEEUllE3_ZNSM_ILm256EEEvSN_EUlllE1_ZNSM_ILm256EEEvSN_EUllE4_ZNSM_ILm256EEEvSN_EUlllE2_EEENS0_24HipStatementListExecutorISS_NS3_4listIJNS_9statement3ForILl0ENS_6policy3hip11hip_indexerINS_17iteration_mapping6DirectELNS_23kernel_sync_requirementE0EJNS_3hip11IndexGlobalILNS_9named_dimE0ELi256ELi0EEEEEEJNSV_6LambdaILl0EJNSU_IJNS0_9LambdaArgINS0_16lambda_arg_seg_tELl0EEEEEEEEENSW_ILl1ENSX_10sequential8seq_execEJNS18_ILl1EJNSU_IJS1B_NS19_IS1A_Ll1EEEEEEEEEEEENS18_ILl2EJS1C_EEENSW_ILl2ES1F_JNS18_ILl3EJNSU_IJS1B_NS19_IS1A_Ll2EEEEEEEEEEEEEEEEEENS0_9LoopTypesINSU_IJvvvEEES1S_EEEEEEvT0_: ; @_ZN4RAJA8internal22HipKernelLauncherFixedILi256ENS0_8LoopDataIN4camp5tupleIJNS_4SpanINS_9Iterators16numeric_iteratorIllPlEElEESA_NS5_INS6_24strided_numeric_iteratorIllS8_EElEEEEENS4_IJEEENS3_9resources2v13HipEJZN8rajaperf9polybench13POLYBENCH_ADI17runHipVariantImplILm256EEEvNSJ_9VariantIDEEUllE3_ZNSM_ILm256EEEvSN_EUlllE1_ZNSM_ILm256EEEvSN_EUllE4_ZNSM_ILm256EEEvSN_EUlllE2_EEENS0_24HipStatementListExecutorISS_NS3_4listIJNS_9statement3ForILl0ENS_6policy3hip11hip_indexerINS_17iteration_mapping6DirectELNS_23kernel_sync_requirementE0EJNS_3hip11IndexGlobalILNS_9named_dimE0ELi256ELi0EEEEEEJNSV_6LambdaILl0EJNSU_IJNS0_9LambdaArgINS0_16lambda_arg_seg_tELl0EEEEEEEEENSW_ILl1ENSX_10sequential8seq_execEJNS18_ILl1EJNSU_IJS1B_NS19_IS1A_Ll1EEEEEEEEEEEENS18_ILl2EJS1C_EEENSW_ILl2ES1F_JNS18_ILl3EJNSU_IJS1B_NS19_IS1A_Ll2EEEEEEEEEEEEEEEEEENS0_9LoopTypesINSU_IJvvvEEES1S_EEEEEEvT0_
; %bb.0:
	s_load_dwordx16 s[8:23], s[4:5], 0x0
	s_mov_b32 s7, 0
	s_waitcnt lgkmcnt(0)
	s_sub_u32 s0, s10, s8
	s_subb_u32 s1, s11, s9
	s_lshl_b64 s[2:3], s[6:7], 8
	v_or_b32_e32 v0, s2, v0
	v_mov_b32_e32 v1, s3
	v_cmp_gt_i64_e64 s[0:1], s[0:1], v[0:1]
	s_and_saveexec_b64 s[2:3], s[0:1]
	s_cbranch_execz .LBB5_2
; %bb.1:
	s_load_dwordx2 s[6:7], s[4:5], 0x70
	v_mov_b32_e32 v2, s9
	v_add_co_u32_e32 v8, vcc, s8, v0
	v_addc_co_u32_e32 v9, vcc, v2, v1, vcc
	s_waitcnt lgkmcnt(0)
	v_mul_lo_u32 v4, s7, v8
	v_mul_lo_u32 v5, s6, v9
	v_mad_u64_u32 v[2:3], s[6:7], s6, v8, 0
	s_load_dwordx2 s[6:7], s[4:5], 0x58
	s_load_dwordx2 s[10:11], s[4:5], 0xb8
	;; [unrolled: 1-line block ×3, first 2 shown]
	v_mov_b32_e32 v6, 0
	v_add3_u32 v3, v3, v5, v4
	v_lshlrev_b64 v[2:3], 3, v[2:3]
	s_waitcnt lgkmcnt(0)
	v_mov_b32_e32 v4, s7
	v_add_co_u32_e32 v2, vcc, s6, v2
	v_addc_co_u32_e32 v3, vcc, v4, v3, vcc
	v_mul_lo_u32 v10, s11, v8
	v_mul_lo_u32 v11, s10, v9
	v_mad_u64_u32 v[4:5], s[6:7], s10, v8, 0
	v_mov_b32_e32 v7, 0x3ff00000
	global_store_dwordx2 v[2:3], v[6:7], off
	v_add3_u32 v5, v5, v11, v10
	v_lshlrev_b64 v[4:5], 3, v[4:5]
	v_mov_b32_e32 v7, s25
	v_add_co_u32_e32 v4, vcc, s24, v4
	v_addc_co_u32_e32 v5, vcc, v7, v5, vcc
	v_mov_b32_e32 v7, v6
	global_store_dwordx2 v[4:5], v[6:7], off
	global_load_dwordx2 v[2:3], v[2:3], off
	s_load_dwordx2 s[6:7], s[4:5], 0x100
	s_load_dwordx2 s[10:11], s[4:5], 0xe8
	s_waitcnt lgkmcnt(0)
	v_mul_lo_u32 v6, s7, v8
	v_mul_lo_u32 v7, s6, v9
	v_mad_u64_u32 v[4:5], s[6:7], s6, v8, 0
	v_add3_u32 v5, v5, v7, v6
	v_lshlrev_b64 v[4:5], 3, v[4:5]
	v_mov_b32_e32 v6, s11
	v_add_co_u32_e32 v4, vcc, s10, v4
	v_addc_co_u32_e32 v5, vcc, v6, v5, vcc
	s_waitcnt vmcnt(0)
	global_store_dwordx2 v[4:5], v[2:3], off
.LBB5_2:
	s_or_b64 exec, exec, s[2:3]
	s_load_dwordx4 s[36:39], s[4:5], 0x228
	s_sub_u32 s6, s14, s12
	s_subb_u32 s7, s15, s13
	v_cmp_lt_i64_e64 s[2:3], s[6:7], 1
	s_and_b64 vcc, exec, s[2:3]
	s_cbranch_vccnz .LBB5_7
; %bb.3:
	s_load_dwordx2 s[10:11], s[4:5], 0x130
	s_load_dwordx2 s[14:15], s[4:5], 0x148
	;; [unrolled: 1-line block ×3, first 2 shown]
	s_load_dwordx8 s[24:31], s[4:5], 0x178
	s_load_dwordx2 s[34:35], s[4:5], 0x1a8
	s_load_dwordx4 s[40:43], s[4:5], 0x1d8
	v_mov_b32_e32 v2, s9
	v_add_co_u32_e32 v10, vcc, s8, v0
	v_addc_co_u32_e32 v11, vcc, v2, v1, vcc
	s_waitcnt lgkmcnt(0)
	v_mul_lo_u32 v6, s35, v10
	v_mul_lo_u32 v7, s34, v11
	v_mad_u64_u32 v[4:5], s[34:35], s34, v10, 0
	s_lshl_b64 s[12:13], s[12:13], 3
	v_add_co_u32_e32 v12, vcc, -1, v10
	v_add3_u32 v5, v5, v7, v6
	v_lshlrev_b64 v[4:5], 3, v[4:5]
	s_add_u32 s30, s30, s12
	v_addc_co_u32_e32 v13, vcc, -1, v11, vcc
	s_addc_u32 s31, s31, s13
	v_mov_b32_e32 v6, s31
	v_add_co_u32_e32 v4, vcc, s30, v4
	v_addc_co_u32_e32 v5, vcc, v6, v5, vcc
	v_mul_lo_u32 v8, s3, v10
	v_mul_lo_u32 v9, s2, v11
	v_mad_u64_u32 v[6:7], s[30:31], s2, v10, 0
	v_mul_lo_u32 v15, s15, v10
	v_mul_lo_u32 v16, s14, v11
	v_add3_u32 v7, v7, v9, v8
	v_mad_u64_u32 v[8:9], s[14:15], s14, v10, 0
	v_add_co_u32_e32 v4, vcc, -8, v4
	v_lshlrev_b64 v[6:7], 3, v[6:7]
	s_add_u32 s30, s42, s12
	v_addc_co_u32_e32 v5, vcc, -1, v5, vcc
	s_addc_u32 s31, s43, s13
	v_add3_u32 v9, v9, v16, v15
	v_mov_b32_e32 v14, s31
	v_add_co_u32_e32 v6, vcc, s30, v6
	v_lshlrev_b64 v[8:9], 3, v[8:9]
	s_add_u32 s10, s10, s12
	v_addc_co_u32_e32 v7, vcc, v14, v7, vcc
	s_addc_u32 s11, s11, s13
	v_mov_b32_e32 v14, s11
	v_add_co_u32_e32 v8, vcc, s10, v8
	v_addc_co_u32_e32 v9, vcc, v14, v9, vcc
	v_mul_lo_u32 v14, s3, v12
	v_mul_lo_u32 v15, s2, v13
	v_mad_u64_u32 v[12:13], s[10:11], s2, v12, 0
	v_add_co_u32_e32 v8, vcc, -8, v8
	v_lshlrev_b64 v[10:11], 3, v[10:11]
	v_addc_co_u32_e32 v9, vcc, -1, v9, vcc
	v_fma_f64 v[2:3], s[40:41], 2.0, 1.0
	v_add3_u32 v13, v13, v15, v14
	v_add_co_u32_e32 v15, vcc, 8, v10
	v_addc_co_u32_e32 v16, vcc, 0, v11, vcc
	v_mov_b32_e32 v10, s30
	v_mov_b32_e32 v11, s31
	v_mad_u64_u32 v[10:11], s[10:11], s2, v15, v[10:11]
	v_mul_lo_u32 v16, s2, v16
	v_mul_lo_u32 v15, s3, v15
	v_lshlrev_b64 v[12:13], 3, v[12:13]
	v_mov_b32_e32 v14, s31
	v_add_co_u32_e32 v12, vcc, s30, v12
	v_addc_co_u32_e32 v13, vcc, v14, v13, vcc
	v_add3_u32 v11, v15, v11, v16
	s_mov_b64 s[10:11], 0
	s_branch .LBB5_5
.LBB5_4:                                ;   in Loop: Header=BB5_5 Depth=1
	s_or_b64 exec, exec, s[2:3]
	v_add_co_u32_e32 v4, vcc, 8, v4
	v_addc_co_u32_e32 v5, vcc, 0, v5, vcc
	v_add_co_u32_e32 v6, vcc, 8, v6
	v_addc_co_u32_e32 v7, vcc, 0, v7, vcc
	v_add_co_u32_e32 v8, vcc, 8, v8
	v_addc_co_u32_e32 v9, vcc, 0, v9, vcc
	s_add_u32 s10, s10, 1
	v_add_co_u32_e32 v12, vcc, 8, v12
	v_mov_b32_e32 v15, s7
	s_addc_u32 s11, s11, 0
	v_addc_co_u32_e32 v13, vcc, 0, v13, vcc
	v_mov_b32_e32 v14, s6
	v_cmp_lt_i64_e32 vcc, s[10:11], v[14:15]
	v_add_co_u32_e64 v10, s[2:3], 8, v10
	v_addc_co_u32_e64 v11, s[2:3], 0, v11, s[2:3]
	s_cbranch_vccz .LBB5_7
.LBB5_5:                                ; =>This Inner Loop Header: Depth=1
	s_and_saveexec_b64 s[2:3], s[0:1]
	s_cbranch_execz .LBB5_4
; %bb.6:                                ;   in Loop: Header=BB5_5 Depth=1
	global_load_dwordx2 v[14:15], v[8:9], off
	v_mov_b32_e32 v16, s28
	v_mov_b32_e32 v17, s29
	s_waitcnt vmcnt(0)
	v_fma_f64 v[14:15], s[26:27], v[14:15], v[16:17]
	v_div_scale_f64 v[16:17], s[12:13], v[14:15], v[14:15], -s[24:25]
	v_rcp_f64_e32 v[18:19], v[16:17]
	v_fma_f64 v[20:21], -v[16:17], v[18:19], 1.0
	v_fma_f64 v[18:19], v[18:19], v[20:21], v[18:19]
	v_div_scale_f64 v[20:21], vcc, -s[24:25], v[14:15], -s[24:25]
	v_fma_f64 v[22:23], -v[16:17], v[18:19], 1.0
	v_fma_f64 v[18:19], v[18:19], v[22:23], v[18:19]
	v_mul_f64 v[22:23], v[20:21], v[18:19]
	v_fma_f64 v[16:17], -v[16:17], v[22:23], v[20:21]
	v_div_fmas_f64 v[16:17], v[16:17], v[18:19], v[22:23]
	v_div_fixup_f64 v[16:17], v[16:17], v[14:15], -s[24:25]
	global_store_dwordx2 v[8:9], v[16:17], off offset:8
	global_load_dwordx2 v[16:17], v[12:13], off
	s_nop 0
	global_load_dwordx2 v[18:19], v[6:7], off
	global_load_dwordx2 v[20:21], v[10:11], off
	;; [unrolled: 1-line block ×3, first 2 shown]
	s_waitcnt vmcnt(3)
	v_mul_f64 v[16:17], s[40:41], v[16:17]
	s_waitcnt vmcnt(2)
	v_fma_f64 v[16:17], v[2:3], v[18:19], -v[16:17]
	s_waitcnt vmcnt(1)
	v_fma_f64 v[16:17], -s[36:37], v[20:21], v[16:17]
	s_waitcnt vmcnt(0)
	v_fma_f64 v[16:17], -s[26:27], v[22:23], v[16:17]
	v_div_scale_f64 v[18:19], s[12:13], v[14:15], v[14:15], v[16:17]
	v_div_scale_f64 v[24:25], vcc, v[16:17], v[14:15], v[16:17]
	v_rcp_f64_e32 v[20:21], v[18:19]
	v_fma_f64 v[22:23], -v[18:19], v[20:21], 1.0
	v_fma_f64 v[20:21], v[20:21], v[22:23], v[20:21]
	v_fma_f64 v[22:23], -v[18:19], v[20:21], 1.0
	v_fma_f64 v[20:21], v[20:21], v[22:23], v[20:21]
	v_mul_f64 v[22:23], v[24:25], v[20:21]
	v_fma_f64 v[18:19], -v[18:19], v[22:23], v[24:25]
	v_div_fmas_f64 v[18:19], v[18:19], v[20:21], v[22:23]
	v_div_fixup_f64 v[14:15], v[18:19], v[14:15], v[16:17]
	global_store_dwordx2 v[4:5], v[14:15], off offset:8
	s_branch .LBB5_4
.LBB5_7:
	s_load_dwordx4 s[12:15], s[4:5], 0x278
	s_and_saveexec_b64 s[2:3], s[0:1]
	s_cbranch_execz .LBB5_9
; %bb.8:
	s_load_dwordx2 s[6:7], s[4:5], 0x248
	v_mov_b32_e32 v2, s9
	v_add_co_u32_e32 v3, vcc, s8, v0
	v_addc_co_u32_e32 v2, vcc, v2, v1, vcc
	s_waitcnt lgkmcnt(0)
	v_mul_lo_u32 v4, s7, v3
	v_mul_lo_u32 v5, s6, v2
	v_mad_u64_u32 v[2:3], s[6:7], s6, v3, 0
	s_lshl_b64 s[6:7], s[12:13], 3
	s_add_u32 s6, s38, s6
	v_add3_u32 v3, v3, v5, v4
	v_lshlrev_b64 v[2:3], 3, v[2:3]
	s_addc_u32 s7, s39, s7
	v_mov_b32_e32 v4, s7
	v_add_co_u32_e32 v2, vcc, s6, v2
	v_addc_co_u32_e32 v3, vcc, v4, v3, vcc
	v_mov_b32_e32 v4, 0
	v_mov_b32_e32 v5, 0x3ff00000
	global_store_dwordx2 v[2:3], v[4:5], off offset:-8
.LBB5_9:
	s_or_b64 exec, exec, s[2:3]
	s_sub_u32 s2, s20, s16
	s_subb_u32 s3, s21, s17
	s_or_b64 s[6:7], s[2:3], s[22:23]
	s_mov_b32 s6, 0
	s_cmp_lg_u64 s[6:7], 0
	s_cbranch_scc0 .LBB5_18
; %bb.10:
	s_ashr_i32 s6, s23, 31
	s_add_u32 s10, s22, s6
	s_mov_b32 s7, s6
	s_addc_u32 s11, s23, s6
	s_waitcnt lgkmcnt(0)
	s_xor_b64 s[12:13], s[10:11], s[6:7]
	v_cvt_f32_u32_e32 v2, s12
	v_cvt_f32_u32_e32 v3, s13
	s_sub_u32 s24, 0, s12
	s_subb_u32 s25, 0, s13
	v_madmk_f32 v2, v3, 0x4f800000, v2
	v_rcp_f32_e32 v2, v2
	v_mul_f32_e32 v2, 0x5f7ffffc, v2
	v_mul_f32_e32 v3, 0x2f800000, v2
	v_trunc_f32_e32 v3, v3
	v_madmk_f32 v2, v3, 0xcf800000, v2
	v_cvt_u32_f32_e32 v3, v3
	v_cvt_u32_f32_e32 v2, v2
	v_readfirstlane_b32 s26, v3
	v_readfirstlane_b32 s20, v2
	s_mul_i32 s21, s24, s26
	s_mul_hi_u32 s28, s24, s20
	s_mul_i32 s27, s25, s20
	s_add_i32 s21, s28, s21
	s_add_i32 s21, s21, s27
	s_mul_i32 s29, s24, s20
	s_mul_i32 s28, s20, s21
	s_mul_hi_u32 s30, s20, s29
	s_mul_hi_u32 s27, s20, s21
	s_add_u32 s28, s30, s28
	s_addc_u32 s27, 0, s27
	s_mul_hi_u32 s31, s26, s29
	s_mul_i32 s29, s26, s29
	s_add_u32 s28, s28, s29
	s_mul_hi_u32 s30, s26, s21
	s_addc_u32 s27, s27, s31
	s_addc_u32 s28, s30, 0
	s_mul_i32 s21, s26, s21
	s_add_u32 s21, s27, s21
	s_addc_u32 s27, 0, s28
	s_add_u32 s28, s20, s21
	s_cselect_b64 s[20:21], -1, 0
	s_cmp_lg_u64 s[20:21], 0
	s_addc_u32 s26, s26, s27
	s_mul_i32 s20, s24, s26
	s_mul_hi_u32 s21, s24, s28
	s_add_i32 s20, s21, s20
	s_mul_i32 s25, s25, s28
	s_add_i32 s20, s20, s25
	s_mul_i32 s24, s24, s28
	s_mul_hi_u32 s25, s26, s24
	s_mul_i32 s27, s26, s24
	s_mul_i32 s30, s28, s20
	s_mul_hi_u32 s24, s28, s24
	s_mul_hi_u32 s29, s28, s20
	s_add_u32 s24, s24, s30
	s_addc_u32 s29, 0, s29
	s_add_u32 s24, s24, s27
	s_mul_hi_u32 s21, s26, s20
	s_addc_u32 s24, s29, s25
	s_addc_u32 s21, s21, 0
	s_mul_i32 s20, s26, s20
	s_add_u32 s20, s24, s20
	s_addc_u32 s24, 0, s21
	s_add_u32 s27, s28, s20
	s_cselect_b64 s[20:21], -1, 0
	s_cmp_lg_u64 s[20:21], 0
	s_addc_u32 s26, s26, s24
	s_ashr_i32 s20, s3, 31
	s_add_u32 s24, s2, s20
	s_mov_b32 s21, s20
	s_addc_u32 s25, s3, s20
	s_xor_b64 s[24:25], s[24:25], s[20:21]
	s_mul_i32 s29, s24, s26
	s_mul_hi_u32 s30, s24, s27
	s_mul_hi_u32 s28, s24, s26
	s_add_u32 s29, s30, s29
	s_addc_u32 s28, 0, s28
	s_mul_hi_u32 s31, s25, s27
	s_mul_i32 s27, s25, s27
	s_add_u32 s27, s29, s27
	s_mul_hi_u32 s30, s25, s26
	s_addc_u32 s27, s28, s31
	s_addc_u32 s28, s30, 0
	s_mul_i32 s26, s25, s26
	s_add_u32 s30, s27, s26
	s_addc_u32 s31, 0, s28
	s_mul_i32 s26, s12, s31
	s_mul_hi_u32 s27, s12, s30
	s_add_i32 s26, s27, s26
	s_mul_i32 s27, s13, s30
	s_add_i32 s33, s26, s27
	s_sub_i32 s28, s25, s33
	s_mul_i32 s26, s12, s30
	s_sub_u32 s24, s24, s26
	s_cselect_b64 s[26:27], -1, 0
	s_cmp_lg_u64 s[26:27], 0
	s_subb_u32 s34, s28, s13
	s_sub_u32 s35, s24, s12
	s_cselect_b64 s[28:29], -1, 0
	s_cmp_lg_u64 s[28:29], 0
	s_subb_u32 s28, s34, 0
	s_cmp_ge_u32 s28, s13
	s_cselect_b32 s29, -1, 0
	s_cmp_ge_u32 s35, s12
	s_cselect_b32 s34, -1, 0
	s_cmp_eq_u32 s28, s13
	s_cselect_b32 s28, s34, s29
	s_add_u32 s29, s30, 1
	s_addc_u32 s34, s31, 0
	s_add_u32 s35, s30, 2
	s_addc_u32 s36, s31, 0
	s_cmp_lg_u32 s28, 0
	s_cselect_b32 s28, s35, s29
	s_cselect_b32 s29, s36, s34
	s_cmp_lg_u64 s[26:27], 0
	s_subb_u32 s25, s25, s33
	s_cmp_ge_u32 s25, s13
	s_cselect_b32 s26, -1, 0
	s_cmp_ge_u32 s24, s12
	s_cselect_b32 s12, -1, 0
	s_cmp_eq_u32 s25, s13
	s_cselect_b32 s12, s12, s26
	s_cmp_lg_u32 s12, 0
	s_cselect_b32 s13, s29, s31
	s_cselect_b32 s12, s28, s30
	s_xor_b64 s[6:7], s[20:21], s[6:7]
	s_xor_b64 s[12:13], s[12:13], s[6:7]
	s_sub_u32 s6, s12, s6
	s_subb_u32 s7, s13, s7
	s_cbranch_execnz .LBB5_12
.LBB5_11:
	v_cvt_f32_u32_e32 v2, s22
	s_sub_i32 s6, 0, s22
	s_mov_b32 s7, 0
	v_rcp_iflag_f32_e32 v2, v2
	v_mul_f32_e32 v2, 0x4f7ffffe, v2
	v_cvt_u32_f32_e32 v2, v2
	v_readfirstlane_b32 s10, v2
	s_mul_i32 s6, s6, s10
	s_mul_hi_u32 s6, s10, s6
	s_add_i32 s10, s10, s6
	s_mul_hi_u32 s6, s2, s10
	s_mul_i32 s11, s6, s22
	s_sub_i32 s11, s2, s11
	s_add_i32 s10, s6, 1
	s_waitcnt lgkmcnt(0)
	s_sub_i32 s12, s11, s22
	s_cmp_ge_u32 s11, s22
	s_cselect_b32 s6, s10, s6
	s_cselect_b32 s11, s12, s11
	s_add_i32 s10, s6, 1
	s_cmp_ge_u32 s11, s22
	s_cselect_b32 s6, s10, s6
.LBB5_12:
	s_mul_i32 s10, s6, s23
	s_mul_hi_u32 s11, s6, s22
	s_add_i32 s10, s11, s10
	s_mul_i32 s11, s7, s22
	s_add_i32 s10, s10, s11
	s_mul_i32 s11, s6, s22
	s_sub_u32 s2, s2, s11
	s_subb_u32 s3, s3, s10
	s_cmp_lg_u64 s[2:3], 0
	s_cselect_b64 s[2:3], -1, 0
	v_cndmask_b32_e64 v2, 0, 1, s[2:3]
	v_mov_b32_e32 v3, s7
	v_add_co_u32_e32 v2, vcc, s6, v2
	v_addc_co_u32_e32 v3, vcc, 0, v3, vcc
	v_cmp_gt_i64_e32 vcc, 1, v[2:3]
	s_cbranch_vccnz .LBB5_17
; %bb.13:
	s_load_dwordx2 s[2:3], s[4:5], 0x2e0
	s_load_dwordx2 s[6:7], s[4:5], 0x310
	v_mov_b32_e32 v4, s9
	v_add_co_u32_e32 v5, vcc, s8, v0
	v_addc_co_u32_e32 v4, vcc, v4, v1, vcc
	s_waitcnt lgkmcnt(0)
	v_mul_lo_u32 v6, s3, v5
	v_mul_lo_u32 v7, s2, v4
	v_mad_u64_u32 v[0:1], s[2:3], s2, v5, 0
	s_load_dwordx2 s[2:3], s[4:5], 0x2c8
	s_load_dwordx2 s[8:9], s[4:5], 0x298
	;; [unrolled: 1-line block ×3, first 2 shown]
	v_add3_u32 v1, v1, v7, v6
	v_lshlrev_b64 v[0:1], 3, v[0:1]
	s_waitcnt lgkmcnt(0)
	v_mul_lo_u32 v9, s9, v5
	v_mul_lo_u32 v10, s8, v4
	v_mad_u64_u32 v[6:7], s[4:5], s8, v5, 0
	v_mul_lo_u32 v11, s11, v5
	v_mul_lo_u32 v12, s10, v4
	v_mad_u64_u32 v[4:5], s[4:5], s10, v5, 0
	v_mov_b32_e32 v8, s3
	v_add_co_u32_e32 v0, vcc, s2, v0
	v_add3_u32 v5, v5, v12, v11
	v_lshlrev_b64 v[4:5], 3, v[4:5]
	v_addc_co_u32_e32 v1, vcc, v8, v1, vcc
	v_add3_u32 v7, v7, v10, v9
	v_mov_b32_e32 v8, s7
	v_add_co_u32_e32 v4, vcc, s6, v4
	v_lshlrev_b64 v[6:7], 3, v[6:7]
	v_addc_co_u32_e32 v5, vcc, v8, v5, vcc
	v_mov_b32_e32 v8, s15
	v_add_co_u32_e32 v6, vcc, s14, v6
	v_addc_co_u32_e32 v7, vcc, v8, v7, vcc
	s_lshl_b64 s[2:3], s[16:17], 3
	s_lshl_b64 s[4:5], s[18:19], 3
	s_branch .LBB5_15
.LBB5_14:                               ;   in Loop: Header=BB5_15 Depth=1
	s_or_b64 exec, exec, s[6:7]
	v_add_co_u32_e32 v2, vcc, -1, v2
	v_addc_co_u32_e32 v3, vcc, -1, v3, vcc
	v_cmp_ne_u64_e32 vcc, 0, v[2:3]
	s_add_u32 s2, s2, s4
	s_addc_u32 s3, s3, s5
	s_cbranch_vccz .LBB5_17
.LBB5_15:                               ; =>This Inner Loop Header: Depth=1
	s_and_saveexec_b64 s[6:7], s[0:1]
	s_cbranch_execz .LBB5_14
; %bb.16:                               ;   in Loop: Header=BB5_15 Depth=1
	v_mov_b32_e32 v15, s3
	v_add_co_u32_e32 v8, vcc, s2, v0
	v_addc_co_u32_e32 v9, vcc, v1, v15, vcc
	v_add_co_u32_e32 v10, vcc, s2, v6
	v_addc_co_u32_e32 v11, vcc, v7, v15, vcc
	;; [unrolled: 2-line block ×3, first 2 shown]
	global_load_dwordx2 v[8:9], v[8:9], off
	s_nop 0
	global_load_dwordx2 v[12:13], v[10:11], off offset:8
	s_nop 0
	global_load_dwordx2 v[14:15], v[14:15], off
	s_waitcnt vmcnt(0)
	v_fma_f64 v[8:9], v[8:9], v[12:13], v[14:15]
	global_store_dwordx2 v[10:11], v[8:9], off
	s_branch .LBB5_14
.LBB5_17:
	s_endpgm
.LBB5_18:
                                        ; implicit-def: $sgpr6_sgpr7
	s_branch .LBB5_11
	.section	.rodata,"a",@progbits
	.p2align	6, 0x0
	.amdhsa_kernel _ZN4RAJA8internal22HipKernelLauncherFixedILi256ENS0_8LoopDataIN4camp5tupleIJNS_4SpanINS_9Iterators16numeric_iteratorIllPlEElEESA_NS5_INS6_24strided_numeric_iteratorIllS8_EElEEEEENS4_IJEEENS3_9resources2v13HipEJZN8rajaperf9polybench13POLYBENCH_ADI17runHipVariantImplILm256EEEvNSJ_9VariantIDEEUllE3_ZNSM_ILm256EEEvSN_EUlllE1_ZNSM_ILm256EEEvSN_EUllE4_ZNSM_ILm256EEEvSN_EUlllE2_EEENS0_24HipStatementListExecutorISS_NS3_4listIJNS_9statement3ForILl0ENS_6policy3hip11hip_indexerINS_17iteration_mapping6DirectELNS_23kernel_sync_requirementE0EJNS_3hip11IndexGlobalILNS_9named_dimE0ELi256ELi0EEEEEEJNSV_6LambdaILl0EJNSU_IJNS0_9LambdaArgINS0_16lambda_arg_seg_tELl0EEEEEEEEENSW_ILl1ENSX_10sequential8seq_execEJNS18_ILl1EJNSU_IJS1B_NS19_IS1A_Ll1EEEEEEEEEEEENS18_ILl2EJS1C_EEENSW_ILl2ES1F_JNS18_ILl3EJNSU_IJS1B_NS19_IS1A_Ll2EEEEEEEEEEEEEEEEEENS0_9LoopTypesINSU_IJvvvEEES1S_EEEEEEvT0_
		.amdhsa_group_segment_fixed_size 0
		.amdhsa_private_segment_fixed_size 0
		.amdhsa_kernarg_size 896
		.amdhsa_user_sgpr_count 6
		.amdhsa_user_sgpr_private_segment_buffer 1
		.amdhsa_user_sgpr_dispatch_ptr 0
		.amdhsa_user_sgpr_queue_ptr 0
		.amdhsa_user_sgpr_kernarg_segment_ptr 1
		.amdhsa_user_sgpr_dispatch_id 0
		.amdhsa_user_sgpr_flat_scratch_init 0
		.amdhsa_user_sgpr_private_segment_size 0
		.amdhsa_uses_dynamic_stack 0
		.amdhsa_system_sgpr_private_segment_wavefront_offset 0
		.amdhsa_system_sgpr_workgroup_id_x 1
		.amdhsa_system_sgpr_workgroup_id_y 0
		.amdhsa_system_sgpr_workgroup_id_z 0
		.amdhsa_system_sgpr_workgroup_info 0
		.amdhsa_system_vgpr_workitem_id 0
		.amdhsa_next_free_vgpr 26
		.amdhsa_next_free_sgpr 44
		.amdhsa_reserve_vcc 1
		.amdhsa_reserve_flat_scratch 0
		.amdhsa_float_round_mode_32 0
		.amdhsa_float_round_mode_16_64 0
		.amdhsa_float_denorm_mode_32 3
		.amdhsa_float_denorm_mode_16_64 3
		.amdhsa_dx10_clamp 1
		.amdhsa_ieee_mode 1
		.amdhsa_fp16_overflow 0
		.amdhsa_exception_fp_ieee_invalid_op 0
		.amdhsa_exception_fp_denorm_src 0
		.amdhsa_exception_fp_ieee_div_zero 0
		.amdhsa_exception_fp_ieee_overflow 0
		.amdhsa_exception_fp_ieee_underflow 0
		.amdhsa_exception_fp_ieee_inexact 0
		.amdhsa_exception_int_div_zero 0
	.end_amdhsa_kernel
	.section	.text._ZN4RAJA8internal22HipKernelLauncherFixedILi256ENS0_8LoopDataIN4camp5tupleIJNS_4SpanINS_9Iterators16numeric_iteratorIllPlEElEESA_NS5_INS6_24strided_numeric_iteratorIllS8_EElEEEEENS4_IJEEENS3_9resources2v13HipEJZN8rajaperf9polybench13POLYBENCH_ADI17runHipVariantImplILm256EEEvNSJ_9VariantIDEEUllE3_ZNSM_ILm256EEEvSN_EUlllE1_ZNSM_ILm256EEEvSN_EUllE4_ZNSM_ILm256EEEvSN_EUlllE2_EEENS0_24HipStatementListExecutorISS_NS3_4listIJNS_9statement3ForILl0ENS_6policy3hip11hip_indexerINS_17iteration_mapping6DirectELNS_23kernel_sync_requirementE0EJNS_3hip11IndexGlobalILNS_9named_dimE0ELi256ELi0EEEEEEJNSV_6LambdaILl0EJNSU_IJNS0_9LambdaArgINS0_16lambda_arg_seg_tELl0EEEEEEEEENSW_ILl1ENSX_10sequential8seq_execEJNS18_ILl1EJNSU_IJS1B_NS19_IS1A_Ll1EEEEEEEEEEEENS18_ILl2EJS1C_EEENSW_ILl2ES1F_JNS18_ILl3EJNSU_IJS1B_NS19_IS1A_Ll2EEEEEEEEEEEEEEEEEENS0_9LoopTypesINSU_IJvvvEEES1S_EEEEEEvT0_,"axG",@progbits,_ZN4RAJA8internal22HipKernelLauncherFixedILi256ENS0_8LoopDataIN4camp5tupleIJNS_4SpanINS_9Iterators16numeric_iteratorIllPlEElEESA_NS5_INS6_24strided_numeric_iteratorIllS8_EElEEEEENS4_IJEEENS3_9resources2v13HipEJZN8rajaperf9polybench13POLYBENCH_ADI17runHipVariantImplILm256EEEvNSJ_9VariantIDEEUllE3_ZNSM_ILm256EEEvSN_EUlllE1_ZNSM_ILm256EEEvSN_EUllE4_ZNSM_ILm256EEEvSN_EUlllE2_EEENS0_24HipStatementListExecutorISS_NS3_4listIJNS_9statement3ForILl0ENS_6policy3hip11hip_indexerINS_17iteration_mapping6DirectELNS_23kernel_sync_requirementE0EJNS_3hip11IndexGlobalILNS_9named_dimE0ELi256ELi0EEEEEEJNSV_6LambdaILl0EJNSU_IJNS0_9LambdaArgINS0_16lambda_arg_seg_tELl0EEEEEEEEENSW_ILl1ENSX_10sequential8seq_execEJNS18_ILl1EJNSU_IJS1B_NS19_IS1A_Ll1EEEEEEEEEEEENS18_ILl2EJS1C_EEENSW_ILl2ES1F_JNS18_ILl3EJNSU_IJS1B_NS19_IS1A_Ll2EEEEEEEEEEEEEEEEEENS0_9LoopTypesINSU_IJvvvEEES1S_EEEEEEvT0_,comdat
.Lfunc_end5:
	.size	_ZN4RAJA8internal22HipKernelLauncherFixedILi256ENS0_8LoopDataIN4camp5tupleIJNS_4SpanINS_9Iterators16numeric_iteratorIllPlEElEESA_NS5_INS6_24strided_numeric_iteratorIllS8_EElEEEEENS4_IJEEENS3_9resources2v13HipEJZN8rajaperf9polybench13POLYBENCH_ADI17runHipVariantImplILm256EEEvNSJ_9VariantIDEEUllE3_ZNSM_ILm256EEEvSN_EUlllE1_ZNSM_ILm256EEEvSN_EUllE4_ZNSM_ILm256EEEvSN_EUlllE2_EEENS0_24HipStatementListExecutorISS_NS3_4listIJNS_9statement3ForILl0ENS_6policy3hip11hip_indexerINS_17iteration_mapping6DirectELNS_23kernel_sync_requirementE0EJNS_3hip11IndexGlobalILNS_9named_dimE0ELi256ELi0EEEEEEJNSV_6LambdaILl0EJNSU_IJNS0_9LambdaArgINS0_16lambda_arg_seg_tELl0EEEEEEEEENSW_ILl1ENSX_10sequential8seq_execEJNS18_ILl1EJNSU_IJS1B_NS19_IS1A_Ll1EEEEEEEEEEEENS18_ILl2EJS1C_EEENSW_ILl2ES1F_JNS18_ILl3EJNSU_IJS1B_NS19_IS1A_Ll2EEEEEEEEEEEEEEEEEENS0_9LoopTypesINSU_IJvvvEEES1S_EEEEEEvT0_, .Lfunc_end5-_ZN4RAJA8internal22HipKernelLauncherFixedILi256ENS0_8LoopDataIN4camp5tupleIJNS_4SpanINS_9Iterators16numeric_iteratorIllPlEElEESA_NS5_INS6_24strided_numeric_iteratorIllS8_EElEEEEENS4_IJEEENS3_9resources2v13HipEJZN8rajaperf9polybench13POLYBENCH_ADI17runHipVariantImplILm256EEEvNSJ_9VariantIDEEUllE3_ZNSM_ILm256EEEvSN_EUlllE1_ZNSM_ILm256EEEvSN_EUllE4_ZNSM_ILm256EEEvSN_EUlllE2_EEENS0_24HipStatementListExecutorISS_NS3_4listIJNS_9statement3ForILl0ENS_6policy3hip11hip_indexerINS_17iteration_mapping6DirectELNS_23kernel_sync_requirementE0EJNS_3hip11IndexGlobalILNS_9named_dimE0ELi256ELi0EEEEEEJNSV_6LambdaILl0EJNSU_IJNS0_9LambdaArgINS0_16lambda_arg_seg_tELl0EEEEEEEEENSW_ILl1ENSX_10sequential8seq_execEJNS18_ILl1EJNSU_IJS1B_NS19_IS1A_Ll1EEEEEEEEEEEENS18_ILl2EJS1C_EEENSW_ILl2ES1F_JNS18_ILl3EJNSU_IJS1B_NS19_IS1A_Ll2EEEEEEEEEEEEEEEEEENS0_9LoopTypesINSU_IJvvvEEES1S_EEEEEEvT0_
                                        ; -- End function
	.set _ZN4RAJA8internal22HipKernelLauncherFixedILi256ENS0_8LoopDataIN4camp5tupleIJNS_4SpanINS_9Iterators16numeric_iteratorIllPlEElEESA_NS5_INS6_24strided_numeric_iteratorIllS8_EElEEEEENS4_IJEEENS3_9resources2v13HipEJZN8rajaperf9polybench13POLYBENCH_ADI17runHipVariantImplILm256EEEvNSJ_9VariantIDEEUllE3_ZNSM_ILm256EEEvSN_EUlllE1_ZNSM_ILm256EEEvSN_EUllE4_ZNSM_ILm256EEEvSN_EUlllE2_EEENS0_24HipStatementListExecutorISS_NS3_4listIJNS_9statement3ForILl0ENS_6policy3hip11hip_indexerINS_17iteration_mapping6DirectELNS_23kernel_sync_requirementE0EJNS_3hip11IndexGlobalILNS_9named_dimE0ELi256ELi0EEEEEEJNSV_6LambdaILl0EJNSU_IJNS0_9LambdaArgINS0_16lambda_arg_seg_tELl0EEEEEEEEENSW_ILl1ENSX_10sequential8seq_execEJNS18_ILl1EJNSU_IJS1B_NS19_IS1A_Ll1EEEEEEEEEEEENS18_ILl2EJS1C_EEENSW_ILl2ES1F_JNS18_ILl3EJNSU_IJS1B_NS19_IS1A_Ll2EEEEEEEEEEEEEEEEEENS0_9LoopTypesINSU_IJvvvEEES1S_EEEEEEvT0_.num_vgpr, 26
	.set _ZN4RAJA8internal22HipKernelLauncherFixedILi256ENS0_8LoopDataIN4camp5tupleIJNS_4SpanINS_9Iterators16numeric_iteratorIllPlEElEESA_NS5_INS6_24strided_numeric_iteratorIllS8_EElEEEEENS4_IJEEENS3_9resources2v13HipEJZN8rajaperf9polybench13POLYBENCH_ADI17runHipVariantImplILm256EEEvNSJ_9VariantIDEEUllE3_ZNSM_ILm256EEEvSN_EUlllE1_ZNSM_ILm256EEEvSN_EUllE4_ZNSM_ILm256EEEvSN_EUlllE2_EEENS0_24HipStatementListExecutorISS_NS3_4listIJNS_9statement3ForILl0ENS_6policy3hip11hip_indexerINS_17iteration_mapping6DirectELNS_23kernel_sync_requirementE0EJNS_3hip11IndexGlobalILNS_9named_dimE0ELi256ELi0EEEEEEJNSV_6LambdaILl0EJNSU_IJNS0_9LambdaArgINS0_16lambda_arg_seg_tELl0EEEEEEEEENSW_ILl1ENSX_10sequential8seq_execEJNS18_ILl1EJNSU_IJS1B_NS19_IS1A_Ll1EEEEEEEEEEEENS18_ILl2EJS1C_EEENSW_ILl2ES1F_JNS18_ILl3EJNSU_IJS1B_NS19_IS1A_Ll2EEEEEEEEEEEEEEEEEENS0_9LoopTypesINSU_IJvvvEEES1S_EEEEEEvT0_.num_agpr, 0
	.set _ZN4RAJA8internal22HipKernelLauncherFixedILi256ENS0_8LoopDataIN4camp5tupleIJNS_4SpanINS_9Iterators16numeric_iteratorIllPlEElEESA_NS5_INS6_24strided_numeric_iteratorIllS8_EElEEEEENS4_IJEEENS3_9resources2v13HipEJZN8rajaperf9polybench13POLYBENCH_ADI17runHipVariantImplILm256EEEvNSJ_9VariantIDEEUllE3_ZNSM_ILm256EEEvSN_EUlllE1_ZNSM_ILm256EEEvSN_EUllE4_ZNSM_ILm256EEEvSN_EUlllE2_EEENS0_24HipStatementListExecutorISS_NS3_4listIJNS_9statement3ForILl0ENS_6policy3hip11hip_indexerINS_17iteration_mapping6DirectELNS_23kernel_sync_requirementE0EJNS_3hip11IndexGlobalILNS_9named_dimE0ELi256ELi0EEEEEEJNSV_6LambdaILl0EJNSU_IJNS0_9LambdaArgINS0_16lambda_arg_seg_tELl0EEEEEEEEENSW_ILl1ENSX_10sequential8seq_execEJNS18_ILl1EJNSU_IJS1B_NS19_IS1A_Ll1EEEEEEEEEEEENS18_ILl2EJS1C_EEENSW_ILl2ES1F_JNS18_ILl3EJNSU_IJS1B_NS19_IS1A_Ll2EEEEEEEEEEEEEEEEEENS0_9LoopTypesINSU_IJvvvEEES1S_EEEEEEvT0_.numbered_sgpr, 44
	.set _ZN4RAJA8internal22HipKernelLauncherFixedILi256ENS0_8LoopDataIN4camp5tupleIJNS_4SpanINS_9Iterators16numeric_iteratorIllPlEElEESA_NS5_INS6_24strided_numeric_iteratorIllS8_EElEEEEENS4_IJEEENS3_9resources2v13HipEJZN8rajaperf9polybench13POLYBENCH_ADI17runHipVariantImplILm256EEEvNSJ_9VariantIDEEUllE3_ZNSM_ILm256EEEvSN_EUlllE1_ZNSM_ILm256EEEvSN_EUllE4_ZNSM_ILm256EEEvSN_EUlllE2_EEENS0_24HipStatementListExecutorISS_NS3_4listIJNS_9statement3ForILl0ENS_6policy3hip11hip_indexerINS_17iteration_mapping6DirectELNS_23kernel_sync_requirementE0EJNS_3hip11IndexGlobalILNS_9named_dimE0ELi256ELi0EEEEEEJNSV_6LambdaILl0EJNSU_IJNS0_9LambdaArgINS0_16lambda_arg_seg_tELl0EEEEEEEEENSW_ILl1ENSX_10sequential8seq_execEJNS18_ILl1EJNSU_IJS1B_NS19_IS1A_Ll1EEEEEEEEEEEENS18_ILl2EJS1C_EEENSW_ILl2ES1F_JNS18_ILl3EJNSU_IJS1B_NS19_IS1A_Ll2EEEEEEEEEEEEEEEEEENS0_9LoopTypesINSU_IJvvvEEES1S_EEEEEEvT0_.num_named_barrier, 0
	.set _ZN4RAJA8internal22HipKernelLauncherFixedILi256ENS0_8LoopDataIN4camp5tupleIJNS_4SpanINS_9Iterators16numeric_iteratorIllPlEElEESA_NS5_INS6_24strided_numeric_iteratorIllS8_EElEEEEENS4_IJEEENS3_9resources2v13HipEJZN8rajaperf9polybench13POLYBENCH_ADI17runHipVariantImplILm256EEEvNSJ_9VariantIDEEUllE3_ZNSM_ILm256EEEvSN_EUlllE1_ZNSM_ILm256EEEvSN_EUllE4_ZNSM_ILm256EEEvSN_EUlllE2_EEENS0_24HipStatementListExecutorISS_NS3_4listIJNS_9statement3ForILl0ENS_6policy3hip11hip_indexerINS_17iteration_mapping6DirectELNS_23kernel_sync_requirementE0EJNS_3hip11IndexGlobalILNS_9named_dimE0ELi256ELi0EEEEEEJNSV_6LambdaILl0EJNSU_IJNS0_9LambdaArgINS0_16lambda_arg_seg_tELl0EEEEEEEEENSW_ILl1ENSX_10sequential8seq_execEJNS18_ILl1EJNSU_IJS1B_NS19_IS1A_Ll1EEEEEEEEEEEENS18_ILl2EJS1C_EEENSW_ILl2ES1F_JNS18_ILl3EJNSU_IJS1B_NS19_IS1A_Ll2EEEEEEEEEEEEEEEEEENS0_9LoopTypesINSU_IJvvvEEES1S_EEEEEEvT0_.private_seg_size, 0
	.set _ZN4RAJA8internal22HipKernelLauncherFixedILi256ENS0_8LoopDataIN4camp5tupleIJNS_4SpanINS_9Iterators16numeric_iteratorIllPlEElEESA_NS5_INS6_24strided_numeric_iteratorIllS8_EElEEEEENS4_IJEEENS3_9resources2v13HipEJZN8rajaperf9polybench13POLYBENCH_ADI17runHipVariantImplILm256EEEvNSJ_9VariantIDEEUllE3_ZNSM_ILm256EEEvSN_EUlllE1_ZNSM_ILm256EEEvSN_EUllE4_ZNSM_ILm256EEEvSN_EUlllE2_EEENS0_24HipStatementListExecutorISS_NS3_4listIJNS_9statement3ForILl0ENS_6policy3hip11hip_indexerINS_17iteration_mapping6DirectELNS_23kernel_sync_requirementE0EJNS_3hip11IndexGlobalILNS_9named_dimE0ELi256ELi0EEEEEEJNSV_6LambdaILl0EJNSU_IJNS0_9LambdaArgINS0_16lambda_arg_seg_tELl0EEEEEEEEENSW_ILl1ENSX_10sequential8seq_execEJNS18_ILl1EJNSU_IJS1B_NS19_IS1A_Ll1EEEEEEEEEEEENS18_ILl2EJS1C_EEENSW_ILl2ES1F_JNS18_ILl3EJNSU_IJS1B_NS19_IS1A_Ll2EEEEEEEEEEEEEEEEEENS0_9LoopTypesINSU_IJvvvEEES1S_EEEEEEvT0_.uses_vcc, 1
	.set _ZN4RAJA8internal22HipKernelLauncherFixedILi256ENS0_8LoopDataIN4camp5tupleIJNS_4SpanINS_9Iterators16numeric_iteratorIllPlEElEESA_NS5_INS6_24strided_numeric_iteratorIllS8_EElEEEEENS4_IJEEENS3_9resources2v13HipEJZN8rajaperf9polybench13POLYBENCH_ADI17runHipVariantImplILm256EEEvNSJ_9VariantIDEEUllE3_ZNSM_ILm256EEEvSN_EUlllE1_ZNSM_ILm256EEEvSN_EUllE4_ZNSM_ILm256EEEvSN_EUlllE2_EEENS0_24HipStatementListExecutorISS_NS3_4listIJNS_9statement3ForILl0ENS_6policy3hip11hip_indexerINS_17iteration_mapping6DirectELNS_23kernel_sync_requirementE0EJNS_3hip11IndexGlobalILNS_9named_dimE0ELi256ELi0EEEEEEJNSV_6LambdaILl0EJNSU_IJNS0_9LambdaArgINS0_16lambda_arg_seg_tELl0EEEEEEEEENSW_ILl1ENSX_10sequential8seq_execEJNS18_ILl1EJNSU_IJS1B_NS19_IS1A_Ll1EEEEEEEEEEEENS18_ILl2EJS1C_EEENSW_ILl2ES1F_JNS18_ILl3EJNSU_IJS1B_NS19_IS1A_Ll2EEEEEEEEEEEEEEEEEENS0_9LoopTypesINSU_IJvvvEEES1S_EEEEEEvT0_.uses_flat_scratch, 0
	.set _ZN4RAJA8internal22HipKernelLauncherFixedILi256ENS0_8LoopDataIN4camp5tupleIJNS_4SpanINS_9Iterators16numeric_iteratorIllPlEElEESA_NS5_INS6_24strided_numeric_iteratorIllS8_EElEEEEENS4_IJEEENS3_9resources2v13HipEJZN8rajaperf9polybench13POLYBENCH_ADI17runHipVariantImplILm256EEEvNSJ_9VariantIDEEUllE3_ZNSM_ILm256EEEvSN_EUlllE1_ZNSM_ILm256EEEvSN_EUllE4_ZNSM_ILm256EEEvSN_EUlllE2_EEENS0_24HipStatementListExecutorISS_NS3_4listIJNS_9statement3ForILl0ENS_6policy3hip11hip_indexerINS_17iteration_mapping6DirectELNS_23kernel_sync_requirementE0EJNS_3hip11IndexGlobalILNS_9named_dimE0ELi256ELi0EEEEEEJNSV_6LambdaILl0EJNSU_IJNS0_9LambdaArgINS0_16lambda_arg_seg_tELl0EEEEEEEEENSW_ILl1ENSX_10sequential8seq_execEJNS18_ILl1EJNSU_IJS1B_NS19_IS1A_Ll1EEEEEEEEEEEENS18_ILl2EJS1C_EEENSW_ILl2ES1F_JNS18_ILl3EJNSU_IJS1B_NS19_IS1A_Ll2EEEEEEEEEEEEEEEEEENS0_9LoopTypesINSU_IJvvvEEES1S_EEEEEEvT0_.has_dyn_sized_stack, 0
	.set _ZN4RAJA8internal22HipKernelLauncherFixedILi256ENS0_8LoopDataIN4camp5tupleIJNS_4SpanINS_9Iterators16numeric_iteratorIllPlEElEESA_NS5_INS6_24strided_numeric_iteratorIllS8_EElEEEEENS4_IJEEENS3_9resources2v13HipEJZN8rajaperf9polybench13POLYBENCH_ADI17runHipVariantImplILm256EEEvNSJ_9VariantIDEEUllE3_ZNSM_ILm256EEEvSN_EUlllE1_ZNSM_ILm256EEEvSN_EUllE4_ZNSM_ILm256EEEvSN_EUlllE2_EEENS0_24HipStatementListExecutorISS_NS3_4listIJNS_9statement3ForILl0ENS_6policy3hip11hip_indexerINS_17iteration_mapping6DirectELNS_23kernel_sync_requirementE0EJNS_3hip11IndexGlobalILNS_9named_dimE0ELi256ELi0EEEEEEJNSV_6LambdaILl0EJNSU_IJNS0_9LambdaArgINS0_16lambda_arg_seg_tELl0EEEEEEEEENSW_ILl1ENSX_10sequential8seq_execEJNS18_ILl1EJNSU_IJS1B_NS19_IS1A_Ll1EEEEEEEEEEEENS18_ILl2EJS1C_EEENSW_ILl2ES1F_JNS18_ILl3EJNSU_IJS1B_NS19_IS1A_Ll2EEEEEEEEEEEEEEEEEENS0_9LoopTypesINSU_IJvvvEEES1S_EEEEEEvT0_.has_recursion, 0
	.set _ZN4RAJA8internal22HipKernelLauncherFixedILi256ENS0_8LoopDataIN4camp5tupleIJNS_4SpanINS_9Iterators16numeric_iteratorIllPlEElEESA_NS5_INS6_24strided_numeric_iteratorIllS8_EElEEEEENS4_IJEEENS3_9resources2v13HipEJZN8rajaperf9polybench13POLYBENCH_ADI17runHipVariantImplILm256EEEvNSJ_9VariantIDEEUllE3_ZNSM_ILm256EEEvSN_EUlllE1_ZNSM_ILm256EEEvSN_EUllE4_ZNSM_ILm256EEEvSN_EUlllE2_EEENS0_24HipStatementListExecutorISS_NS3_4listIJNS_9statement3ForILl0ENS_6policy3hip11hip_indexerINS_17iteration_mapping6DirectELNS_23kernel_sync_requirementE0EJNS_3hip11IndexGlobalILNS_9named_dimE0ELi256ELi0EEEEEEJNSV_6LambdaILl0EJNSU_IJNS0_9LambdaArgINS0_16lambda_arg_seg_tELl0EEEEEEEEENSW_ILl1ENSX_10sequential8seq_execEJNS18_ILl1EJNSU_IJS1B_NS19_IS1A_Ll1EEEEEEEEEEEENS18_ILl2EJS1C_EEENSW_ILl2ES1F_JNS18_ILl3EJNSU_IJS1B_NS19_IS1A_Ll2EEEEEEEEEEEEEEEEEENS0_9LoopTypesINSU_IJvvvEEES1S_EEEEEEvT0_.has_indirect_call, 0
	.section	.AMDGPU.csdata,"",@progbits
; Kernel info:
; codeLenInByte = 2364
; TotalNumSgprs: 48
; NumVgprs: 26
; ScratchSize: 0
; MemoryBound: 1
; FloatMode: 240
; IeeeMode: 1
; LDSByteSize: 0 bytes/workgroup (compile time only)
; SGPRBlocks: 5
; VGPRBlocks: 6
; NumSGPRsForWavesPerEU: 48
; NumVGPRsForWavesPerEU: 26
; Occupancy: 9
; WaveLimiterHint : 0
; COMPUTE_PGM_RSRC2:SCRATCH_EN: 0
; COMPUTE_PGM_RSRC2:USER_SGPR: 6
; COMPUTE_PGM_RSRC2:TRAP_HANDLER: 0
; COMPUTE_PGM_RSRC2:TGID_X_EN: 1
; COMPUTE_PGM_RSRC2:TGID_Y_EN: 0
; COMPUTE_PGM_RSRC2:TGID_Z_EN: 0
; COMPUTE_PGM_RSRC2:TIDIG_COMP_CNT: 0
	.section	.AMDGPU.gpr_maximums,"",@progbits
	.set amdgpu.max_num_vgpr, 0
	.set amdgpu.max_num_agpr, 0
	.set amdgpu.max_num_sgpr, 0
	.section	.AMDGPU.csdata,"",@progbits
	.type	__hip_cuid_3758deb3ba02d85b,@object ; @__hip_cuid_3758deb3ba02d85b
	.section	.bss,"aw",@nobits
	.globl	__hip_cuid_3758deb3ba02d85b
__hip_cuid_3758deb3ba02d85b:
	.byte	0                               ; 0x0
	.size	__hip_cuid_3758deb3ba02d85b, 1

	.ident	"AMD clang version 22.0.0git (https://github.com/RadeonOpenCompute/llvm-project roc-7.2.4 26084 f58b06dce1f9c15707c5f808fd002e18c2accf7e)"
	.section	".note.GNU-stack","",@progbits
	.addrsig
	.addrsig_sym __hip_cuid_3758deb3ba02d85b
	.amdgpu_metadata
---
amdhsa.kernels:
  - .args:
      - .offset:         0
        .size:           8
        .value_kind:     by_value
      - .offset:         8
        .size:           8
        .value_kind:     by_value
      - .offset:         16
        .size:           8
        .value_kind:     by_value
      - .offset:         24
        .size:           8
        .value_kind:     by_value
      - .offset:         32
        .size:           8
        .value_kind:     by_value
      - .offset:         40
        .size:           8
        .value_kind:     by_value
      - .address_space:  global
        .offset:         48
        .size:           8
        .value_kind:     global_buffer
      - .address_space:  global
        .offset:         56
        .size:           8
        .value_kind:     global_buffer
      - .address_space:  global
        .offset:         64
        .size:           8
        .value_kind:     global_buffer
      - .address_space:  global
        .offset:         72
        .size:           8
        .value_kind:     global_buffer
    .group_segment_fixed_size: 0
    .kernarg_segment_align: 8
    .kernarg_segment_size: 80
    .language:       OpenCL C
    .language_version:
      - 2
      - 0
    .max_flat_workgroup_size: 256
    .name:           _ZN8rajaperf9polybench9poly_adi1ILm256EEEvldddddPdS2_S2_S2_
    .private_segment_fixed_size: 0
    .sgpr_count:     50
    .sgpr_spill_count: 0
    .symbol:         _ZN8rajaperf9polybench9poly_adi1ILm256EEEvldddddPdS2_S2_S2_.kd
    .uniform_work_group_size: 1
    .uses_dynamic_stack: false
    .vgpr_count:     26
    .vgpr_spill_count: 0
    .wavefront_size: 64
  - .args:
      - .offset:         0
        .size:           8
        .value_kind:     by_value
      - .offset:         8
        .size:           8
        .value_kind:     by_value
      - .offset:         16
        .size:           8
        .value_kind:     by_value
      - .offset:         24
        .size:           8
        .value_kind:     by_value
      - .offset:         32
        .size:           8
        .value_kind:     by_value
      - .offset:         40
        .size:           8
        .value_kind:     by_value
      - .address_space:  global
        .offset:         48
        .size:           8
        .value_kind:     global_buffer
      - .address_space:  global
        .offset:         56
        .size:           8
        .value_kind:     global_buffer
      - .address_space:  global
        .offset:         64
        .size:           8
        .value_kind:     global_buffer
      - .address_space:  global
        .offset:         72
        .size:           8
        .value_kind:     global_buffer
    .group_segment_fixed_size: 0
    .kernarg_segment_align: 8
    .kernarg_segment_size: 80
    .language:       OpenCL C
    .language_version:
      - 2
      - 0
    .max_flat_workgroup_size: 256
    .name:           _ZN8rajaperf9polybench9poly_adi2ILm256EEEvldddddPdS2_S2_S2_
    .private_segment_fixed_size: 0
    .sgpr_count:     42
    .sgpr_spill_count: 0
    .symbol:         _ZN8rajaperf9polybench9poly_adi2ILm256EEEvldddddPdS2_S2_S2_.kd
    .uniform_work_group_size: 1
    .uses_dynamic_stack: false
    .vgpr_count:     34
    .vgpr_spill_count: 0
    .wavefront_size: 64
  - .args:
      - .offset:         0
        .size:           8
        .value_kind:     by_value
      - .offset:         8
        .size:           80
        .value_kind:     by_value
    .group_segment_fixed_size: 0
    .kernarg_segment_align: 8
    .kernarg_segment_size: 88
    .language:       OpenCL C
    .language_version:
      - 2
      - 0
    .max_flat_workgroup_size: 256
    .name:           _ZN8rajaperf9polybench12poly_adi_lamILm256EZNS0_13POLYBENCH_ADI17runHipVariantImplILm256EEEvNS_9VariantIDEEUllE_EEvlT0_
    .private_segment_fixed_size: 0
    .sgpr_count:     62
    .sgpr_spill_count: 0
    .symbol:         _ZN8rajaperf9polybench12poly_adi_lamILm256EZNS0_13POLYBENCH_ADI17runHipVariantImplILm256EEEvNS_9VariantIDEEUllE_EEvlT0_.kd
    .uniform_work_group_size: 1
    .uses_dynamic_stack: false
    .vgpr_count:     27
    .vgpr_spill_count: 0
    .wavefront_size: 64
  - .args:
      - .offset:         0
        .size:           8
        .value_kind:     by_value
      - .offset:         8
        .size:           80
        .value_kind:     by_value
    .group_segment_fixed_size: 0
    .kernarg_segment_align: 8
    .kernarg_segment_size: 88
    .language:       OpenCL C
    .language_version:
      - 2
      - 0
    .max_flat_workgroup_size: 256
    .name:           _ZN8rajaperf9polybench12poly_adi_lamILm256EZNS0_13POLYBENCH_ADI17runHipVariantImplILm256EEEvNS_9VariantIDEEUllE0_EEvlT0_
    .private_segment_fixed_size: 0
    .sgpr_count:     50
    .sgpr_spill_count: 0
    .symbol:         _ZN8rajaperf9polybench12poly_adi_lamILm256EZNS0_13POLYBENCH_ADI17runHipVariantImplILm256EEEvNS_9VariantIDEEUllE0_EEvlT0_.kd
    .uniform_work_group_size: 1
    .uses_dynamic_stack: false
    .vgpr_count:     29
    .vgpr_spill_count: 0
    .wavefront_size: 64
  - .args:
      - .offset:         0
        .size:           896
        .value_kind:     by_value
    .group_segment_fixed_size: 0
    .kernarg_segment_align: 8
    .kernarg_segment_size: 896
    .language:       OpenCL C
    .language_version:
      - 2
      - 0
    .max_flat_workgroup_size: 256
    .name:           _ZN4RAJA8internal22HipKernelLauncherFixedILi256ENS0_8LoopDataIN4camp5tupleIJNS_4SpanINS_9Iterators16numeric_iteratorIllPlEElEESA_NS5_INS6_24strided_numeric_iteratorIllS8_EElEEEEENS4_IJEEENS3_9resources2v13HipEJZN8rajaperf9polybench13POLYBENCH_ADI17runHipVariantImplILm256EEEvNSJ_9VariantIDEEUllE1_ZNSM_ILm256EEEvSN_EUlllE_ZNSM_ILm256EEEvSN_EUllE2_ZNSM_ILm256EEEvSN_EUlllE0_EEENS0_24HipStatementListExecutorISS_NS3_4listIJNS_9statement3ForILl0ENS_6policy3hip11hip_indexerINS_17iteration_mapping6DirectELNS_23kernel_sync_requirementE0EJNS_3hip11IndexGlobalILNS_9named_dimE0ELi256ELi0EEEEEEJNSV_6LambdaILl0EJNSU_IJNS0_9LambdaArgINS0_16lambda_arg_seg_tELl0EEEEEEEEENSW_ILl1ENSX_10sequential8seq_execEJNS18_ILl1EJNSU_IJS1B_NS19_IS1A_Ll1EEEEEEEEEEEENS18_ILl2EJS1C_EEENSW_ILl2ES1F_JNS18_ILl3EJNSU_IJS1B_NS19_IS1A_Ll2EEEEEEEEEEEEEEEEEENS0_9LoopTypesINSU_IJvvvEEES1S_EEEEEEvT0_
    .private_segment_fixed_size: 0
    .sgpr_count:     48
    .sgpr_spill_count: 0
    .symbol:         _ZN4RAJA8internal22HipKernelLauncherFixedILi256ENS0_8LoopDataIN4camp5tupleIJNS_4SpanINS_9Iterators16numeric_iteratorIllPlEElEESA_NS5_INS6_24strided_numeric_iteratorIllS8_EElEEEEENS4_IJEEENS3_9resources2v13HipEJZN8rajaperf9polybench13POLYBENCH_ADI17runHipVariantImplILm256EEEvNSJ_9VariantIDEEUllE1_ZNSM_ILm256EEEvSN_EUlllE_ZNSM_ILm256EEEvSN_EUllE2_ZNSM_ILm256EEEvSN_EUlllE0_EEENS0_24HipStatementListExecutorISS_NS3_4listIJNS_9statement3ForILl0ENS_6policy3hip11hip_indexerINS_17iteration_mapping6DirectELNS_23kernel_sync_requirementE0EJNS_3hip11IndexGlobalILNS_9named_dimE0ELi256ELi0EEEEEEJNSV_6LambdaILl0EJNSU_IJNS0_9LambdaArgINS0_16lambda_arg_seg_tELl0EEEEEEEEENSW_ILl1ENSX_10sequential8seq_execEJNS18_ILl1EJNSU_IJS1B_NS19_IS1A_Ll1EEEEEEEEEEEENS18_ILl2EJS1C_EEENSW_ILl2ES1F_JNS18_ILl3EJNSU_IJS1B_NS19_IS1A_Ll2EEEEEEEEEEEEEEEEEENS0_9LoopTypesINSU_IJvvvEEES1S_EEEEEEvT0_.kd
    .uniform_work_group_size: 1
    .uses_dynamic_stack: false
    .vgpr_count:     22
    .vgpr_spill_count: 0
    .wavefront_size: 64
  - .args:
      - .offset:         0
        .size:           896
        .value_kind:     by_value
    .group_segment_fixed_size: 0
    .kernarg_segment_align: 8
    .kernarg_segment_size: 896
    .language:       OpenCL C
    .language_version:
      - 2
      - 0
    .max_flat_workgroup_size: 256
    .name:           _ZN4RAJA8internal22HipKernelLauncherFixedILi256ENS0_8LoopDataIN4camp5tupleIJNS_4SpanINS_9Iterators16numeric_iteratorIllPlEElEESA_NS5_INS6_24strided_numeric_iteratorIllS8_EElEEEEENS4_IJEEENS3_9resources2v13HipEJZN8rajaperf9polybench13POLYBENCH_ADI17runHipVariantImplILm256EEEvNSJ_9VariantIDEEUllE3_ZNSM_ILm256EEEvSN_EUlllE1_ZNSM_ILm256EEEvSN_EUllE4_ZNSM_ILm256EEEvSN_EUlllE2_EEENS0_24HipStatementListExecutorISS_NS3_4listIJNS_9statement3ForILl0ENS_6policy3hip11hip_indexerINS_17iteration_mapping6DirectELNS_23kernel_sync_requirementE0EJNS_3hip11IndexGlobalILNS_9named_dimE0ELi256ELi0EEEEEEJNSV_6LambdaILl0EJNSU_IJNS0_9LambdaArgINS0_16lambda_arg_seg_tELl0EEEEEEEEENSW_ILl1ENSX_10sequential8seq_execEJNS18_ILl1EJNSU_IJS1B_NS19_IS1A_Ll1EEEEEEEEEEEENS18_ILl2EJS1C_EEENSW_ILl2ES1F_JNS18_ILl3EJNSU_IJS1B_NS19_IS1A_Ll2EEEEEEEEEEEEEEEEEENS0_9LoopTypesINSU_IJvvvEEES1S_EEEEEEvT0_
    .private_segment_fixed_size: 0
    .sgpr_count:     48
    .sgpr_spill_count: 0
    .symbol:         _ZN4RAJA8internal22HipKernelLauncherFixedILi256ENS0_8LoopDataIN4camp5tupleIJNS_4SpanINS_9Iterators16numeric_iteratorIllPlEElEESA_NS5_INS6_24strided_numeric_iteratorIllS8_EElEEEEENS4_IJEEENS3_9resources2v13HipEJZN8rajaperf9polybench13POLYBENCH_ADI17runHipVariantImplILm256EEEvNSJ_9VariantIDEEUllE3_ZNSM_ILm256EEEvSN_EUlllE1_ZNSM_ILm256EEEvSN_EUllE4_ZNSM_ILm256EEEvSN_EUlllE2_EEENS0_24HipStatementListExecutorISS_NS3_4listIJNS_9statement3ForILl0ENS_6policy3hip11hip_indexerINS_17iteration_mapping6DirectELNS_23kernel_sync_requirementE0EJNS_3hip11IndexGlobalILNS_9named_dimE0ELi256ELi0EEEEEEJNSV_6LambdaILl0EJNSU_IJNS0_9LambdaArgINS0_16lambda_arg_seg_tELl0EEEEEEEEENSW_ILl1ENSX_10sequential8seq_execEJNS18_ILl1EJNSU_IJS1B_NS19_IS1A_Ll1EEEEEEEEEEEENS18_ILl2EJS1C_EEENSW_ILl2ES1F_JNS18_ILl3EJNSU_IJS1B_NS19_IS1A_Ll2EEEEEEEEEEEEEEEEEENS0_9LoopTypesINSU_IJvvvEEES1S_EEEEEEvT0_.kd
    .uniform_work_group_size: 1
    .uses_dynamic_stack: false
    .vgpr_count:     26
    .vgpr_spill_count: 0
    .wavefront_size: 64
amdhsa.target:   amdgcn-amd-amdhsa--gfx906
amdhsa.version:
  - 1
  - 2
...

	.end_amdgpu_metadata
